;; amdgpu-corpus repo=ROCm/rocFFT kind=compiled arch=gfx1100 opt=O3
	.text
	.amdgcn_target "amdgcn-amd-amdhsa--gfx1100"
	.amdhsa_code_object_version 6
	.protected	fft_rtc_back_len3456_factors_6_6_6_4_4_wgs_144_tpt_144_halfLds_dp_ip_CI_unitstride_sbrr_R2C_dirReg ; -- Begin function fft_rtc_back_len3456_factors_6_6_6_4_4_wgs_144_tpt_144_halfLds_dp_ip_CI_unitstride_sbrr_R2C_dirReg
	.globl	fft_rtc_back_len3456_factors_6_6_6_4_4_wgs_144_tpt_144_halfLds_dp_ip_CI_unitstride_sbrr_R2C_dirReg
	.p2align	8
	.type	fft_rtc_back_len3456_factors_6_6_6_4_4_wgs_144_tpt_144_halfLds_dp_ip_CI_unitstride_sbrr_R2C_dirReg,@function
fft_rtc_back_len3456_factors_6_6_6_4_4_wgs_144_tpt_144_halfLds_dp_ip_CI_unitstride_sbrr_R2C_dirReg: ; @fft_rtc_back_len3456_factors_6_6_6_4_4_wgs_144_tpt_144_halfLds_dp_ip_CI_unitstride_sbrr_R2C_dirReg
; %bb.0:
	s_clause 0x2
	s_load_b128 s[4:7], s[0:1], 0x0
	s_load_b64 s[8:9], s[0:1], 0x50
	s_load_b64 s[10:11], s[0:1], 0x18
	v_mul_u32_u24_e32 v1, 0x1c8, v0
	v_mov_b32_e32 v3, 0
	v_mov_b32_e32 v4, 0
	s_delay_alu instid0(VALU_DEP_3) | instskip(SKIP_1) | instid1(VALU_DEP_1)
	v_lshrrev_b32_e32 v2, 16, v1
	v_mov_b32_e32 v1, 0
	v_dual_mov_b32 v6, v1 :: v_dual_add_nc_u32 v5, s15, v2
	s_waitcnt lgkmcnt(0)
	v_cmp_lt_u64_e64 s2, s[6:7], 2
	s_delay_alu instid0(VALU_DEP_1)
	s_and_b32 vcc_lo, exec_lo, s2
	s_cbranch_vccnz .LBB0_8
; %bb.1:
	s_load_b64 s[2:3], s[0:1], 0x10
	v_mov_b32_e32 v3, 0
	s_add_u32 s12, s10, 8
	v_mov_b32_e32 v4, 0
	s_addc_u32 s13, s11, 0
	s_mov_b64 s[16:17], 1
	s_waitcnt lgkmcnt(0)
	s_add_u32 s14, s2, 8
	s_addc_u32 s15, s3, 0
.LBB0_2:                                ; =>This Inner Loop Header: Depth=1
	s_load_b64 s[18:19], s[14:15], 0x0
                                        ; implicit-def: $vgpr7_vgpr8
	s_mov_b32 s2, exec_lo
	s_waitcnt lgkmcnt(0)
	v_or_b32_e32 v2, s19, v6
	s_delay_alu instid0(VALU_DEP_1)
	v_cmpx_ne_u64_e32 0, v[1:2]
	s_xor_b32 s3, exec_lo, s2
	s_cbranch_execz .LBB0_4
; %bb.3:                                ;   in Loop: Header=BB0_2 Depth=1
	v_cvt_f32_u32_e32 v2, s18
	v_cvt_f32_u32_e32 v7, s19
	s_sub_u32 s2, 0, s18
	s_subb_u32 s20, 0, s19
	s_delay_alu instid0(VALU_DEP_1) | instskip(NEXT) | instid1(VALU_DEP_1)
	v_fmac_f32_e32 v2, 0x4f800000, v7
	v_rcp_f32_e32 v2, v2
	s_waitcnt_depctr 0xfff
	v_mul_f32_e32 v2, 0x5f7ffffc, v2
	s_delay_alu instid0(VALU_DEP_1) | instskip(NEXT) | instid1(VALU_DEP_1)
	v_mul_f32_e32 v7, 0x2f800000, v2
	v_trunc_f32_e32 v7, v7
	s_delay_alu instid0(VALU_DEP_1) | instskip(SKIP_1) | instid1(VALU_DEP_2)
	v_fmac_f32_e32 v2, 0xcf800000, v7
	v_cvt_u32_f32_e32 v7, v7
	v_cvt_u32_f32_e32 v2, v2
	s_delay_alu instid0(VALU_DEP_2) | instskip(NEXT) | instid1(VALU_DEP_2)
	v_mul_lo_u32 v8, s2, v7
	v_mul_hi_u32 v9, s2, v2
	v_mul_lo_u32 v10, s20, v2
	s_delay_alu instid0(VALU_DEP_2) | instskip(SKIP_1) | instid1(VALU_DEP_2)
	v_add_nc_u32_e32 v8, v9, v8
	v_mul_lo_u32 v9, s2, v2
	v_add_nc_u32_e32 v8, v8, v10
	s_delay_alu instid0(VALU_DEP_2) | instskip(NEXT) | instid1(VALU_DEP_2)
	v_mul_hi_u32 v10, v2, v9
	v_mul_lo_u32 v11, v2, v8
	v_mul_hi_u32 v12, v2, v8
	v_mul_hi_u32 v13, v7, v9
	v_mul_lo_u32 v9, v7, v9
	v_mul_hi_u32 v14, v7, v8
	v_mul_lo_u32 v8, v7, v8
	v_add_co_u32 v10, vcc_lo, v10, v11
	v_add_co_ci_u32_e32 v11, vcc_lo, 0, v12, vcc_lo
	s_delay_alu instid0(VALU_DEP_2) | instskip(NEXT) | instid1(VALU_DEP_2)
	v_add_co_u32 v9, vcc_lo, v10, v9
	v_add_co_ci_u32_e32 v9, vcc_lo, v11, v13, vcc_lo
	v_add_co_ci_u32_e32 v10, vcc_lo, 0, v14, vcc_lo
	s_delay_alu instid0(VALU_DEP_2) | instskip(NEXT) | instid1(VALU_DEP_2)
	v_add_co_u32 v8, vcc_lo, v9, v8
	v_add_co_ci_u32_e32 v9, vcc_lo, 0, v10, vcc_lo
	s_delay_alu instid0(VALU_DEP_2) | instskip(NEXT) | instid1(VALU_DEP_2)
	v_add_co_u32 v2, vcc_lo, v2, v8
	v_add_co_ci_u32_e32 v7, vcc_lo, v7, v9, vcc_lo
	s_delay_alu instid0(VALU_DEP_2) | instskip(SKIP_1) | instid1(VALU_DEP_3)
	v_mul_hi_u32 v8, s2, v2
	v_mul_lo_u32 v10, s20, v2
	v_mul_lo_u32 v9, s2, v7
	s_delay_alu instid0(VALU_DEP_1) | instskip(SKIP_1) | instid1(VALU_DEP_2)
	v_add_nc_u32_e32 v8, v8, v9
	v_mul_lo_u32 v9, s2, v2
	v_add_nc_u32_e32 v8, v8, v10
	s_delay_alu instid0(VALU_DEP_2) | instskip(NEXT) | instid1(VALU_DEP_2)
	v_mul_hi_u32 v10, v2, v9
	v_mul_lo_u32 v11, v2, v8
	v_mul_hi_u32 v12, v2, v8
	v_mul_hi_u32 v13, v7, v9
	v_mul_lo_u32 v9, v7, v9
	v_mul_hi_u32 v14, v7, v8
	v_mul_lo_u32 v8, v7, v8
	v_add_co_u32 v10, vcc_lo, v10, v11
	v_add_co_ci_u32_e32 v11, vcc_lo, 0, v12, vcc_lo
	s_delay_alu instid0(VALU_DEP_2) | instskip(NEXT) | instid1(VALU_DEP_2)
	v_add_co_u32 v9, vcc_lo, v10, v9
	v_add_co_ci_u32_e32 v9, vcc_lo, v11, v13, vcc_lo
	v_add_co_ci_u32_e32 v10, vcc_lo, 0, v14, vcc_lo
	s_delay_alu instid0(VALU_DEP_2) | instskip(NEXT) | instid1(VALU_DEP_2)
	v_add_co_u32 v8, vcc_lo, v9, v8
	v_add_co_ci_u32_e32 v9, vcc_lo, 0, v10, vcc_lo
	s_delay_alu instid0(VALU_DEP_2) | instskip(NEXT) | instid1(VALU_DEP_2)
	v_add_co_u32 v2, vcc_lo, v2, v8
	v_add_co_ci_u32_e32 v13, vcc_lo, v7, v9, vcc_lo
	s_delay_alu instid0(VALU_DEP_2) | instskip(SKIP_1) | instid1(VALU_DEP_3)
	v_mul_hi_u32 v14, v5, v2
	v_mad_u64_u32 v[9:10], null, v6, v2, 0
	v_mad_u64_u32 v[7:8], null, v5, v13, 0
	;; [unrolled: 1-line block ×3, first 2 shown]
	s_delay_alu instid0(VALU_DEP_2) | instskip(NEXT) | instid1(VALU_DEP_3)
	v_add_co_u32 v2, vcc_lo, v14, v7
	v_add_co_ci_u32_e32 v7, vcc_lo, 0, v8, vcc_lo
	s_delay_alu instid0(VALU_DEP_2) | instskip(NEXT) | instid1(VALU_DEP_2)
	v_add_co_u32 v2, vcc_lo, v2, v9
	v_add_co_ci_u32_e32 v2, vcc_lo, v7, v10, vcc_lo
	v_add_co_ci_u32_e32 v7, vcc_lo, 0, v12, vcc_lo
	s_delay_alu instid0(VALU_DEP_2) | instskip(NEXT) | instid1(VALU_DEP_2)
	v_add_co_u32 v2, vcc_lo, v2, v11
	v_add_co_ci_u32_e32 v9, vcc_lo, 0, v7, vcc_lo
	s_delay_alu instid0(VALU_DEP_2) | instskip(SKIP_1) | instid1(VALU_DEP_3)
	v_mul_lo_u32 v10, s19, v2
	v_mad_u64_u32 v[7:8], null, s18, v2, 0
	v_mul_lo_u32 v11, s18, v9
	s_delay_alu instid0(VALU_DEP_2) | instskip(NEXT) | instid1(VALU_DEP_2)
	v_sub_co_u32 v7, vcc_lo, v5, v7
	v_add3_u32 v8, v8, v11, v10
	s_delay_alu instid0(VALU_DEP_1) | instskip(NEXT) | instid1(VALU_DEP_1)
	v_sub_nc_u32_e32 v10, v6, v8
	v_subrev_co_ci_u32_e64 v10, s2, s19, v10, vcc_lo
	v_add_co_u32 v11, s2, v2, 2
	s_delay_alu instid0(VALU_DEP_1) | instskip(SKIP_3) | instid1(VALU_DEP_3)
	v_add_co_ci_u32_e64 v12, s2, 0, v9, s2
	v_sub_co_u32 v13, s2, v7, s18
	v_sub_co_ci_u32_e32 v8, vcc_lo, v6, v8, vcc_lo
	v_subrev_co_ci_u32_e64 v10, s2, 0, v10, s2
	v_cmp_le_u32_e32 vcc_lo, s18, v13
	s_delay_alu instid0(VALU_DEP_3) | instskip(SKIP_1) | instid1(VALU_DEP_4)
	v_cmp_eq_u32_e64 s2, s19, v8
	v_cndmask_b32_e64 v13, 0, -1, vcc_lo
	v_cmp_le_u32_e32 vcc_lo, s19, v10
	v_cndmask_b32_e64 v14, 0, -1, vcc_lo
	v_cmp_le_u32_e32 vcc_lo, s18, v7
	;; [unrolled: 2-line block ×3, first 2 shown]
	v_cndmask_b32_e64 v15, 0, -1, vcc_lo
	v_cmp_eq_u32_e32 vcc_lo, s19, v10
	s_delay_alu instid0(VALU_DEP_2) | instskip(SKIP_3) | instid1(VALU_DEP_3)
	v_cndmask_b32_e64 v7, v15, v7, s2
	v_cndmask_b32_e32 v10, v14, v13, vcc_lo
	v_add_co_u32 v13, vcc_lo, v2, 1
	v_add_co_ci_u32_e32 v14, vcc_lo, 0, v9, vcc_lo
	v_cmp_ne_u32_e32 vcc_lo, 0, v10
	s_delay_alu instid0(VALU_DEP_2) | instskip(NEXT) | instid1(VALU_DEP_4)
	v_cndmask_b32_e32 v8, v14, v12, vcc_lo
	v_cndmask_b32_e32 v10, v13, v11, vcc_lo
	v_cmp_ne_u32_e32 vcc_lo, 0, v7
	s_delay_alu instid0(VALU_DEP_2)
	v_dual_cndmask_b32 v7, v2, v10 :: v_dual_cndmask_b32 v8, v9, v8
.LBB0_4:                                ;   in Loop: Header=BB0_2 Depth=1
	s_and_not1_saveexec_b32 s2, s3
	s_cbranch_execz .LBB0_6
; %bb.5:                                ;   in Loop: Header=BB0_2 Depth=1
	v_cvt_f32_u32_e32 v2, s18
	s_sub_i32 s3, 0, s18
	s_delay_alu instid0(VALU_DEP_1) | instskip(SKIP_2) | instid1(VALU_DEP_1)
	v_rcp_iflag_f32_e32 v2, v2
	s_waitcnt_depctr 0xfff
	v_mul_f32_e32 v2, 0x4f7ffffe, v2
	v_cvt_u32_f32_e32 v2, v2
	s_delay_alu instid0(VALU_DEP_1) | instskip(NEXT) | instid1(VALU_DEP_1)
	v_mul_lo_u32 v7, s3, v2
	v_mul_hi_u32 v7, v2, v7
	s_delay_alu instid0(VALU_DEP_1) | instskip(NEXT) | instid1(VALU_DEP_1)
	v_add_nc_u32_e32 v2, v2, v7
	v_mul_hi_u32 v2, v5, v2
	s_delay_alu instid0(VALU_DEP_1) | instskip(SKIP_1) | instid1(VALU_DEP_2)
	v_mul_lo_u32 v7, v2, s18
	v_add_nc_u32_e32 v8, 1, v2
	v_sub_nc_u32_e32 v7, v5, v7
	s_delay_alu instid0(VALU_DEP_1) | instskip(SKIP_1) | instid1(VALU_DEP_2)
	v_subrev_nc_u32_e32 v9, s18, v7
	v_cmp_le_u32_e32 vcc_lo, s18, v7
	v_dual_cndmask_b32 v7, v7, v9 :: v_dual_cndmask_b32 v2, v2, v8
	s_delay_alu instid0(VALU_DEP_1) | instskip(NEXT) | instid1(VALU_DEP_2)
	v_cmp_le_u32_e32 vcc_lo, s18, v7
	v_add_nc_u32_e32 v8, 1, v2
	s_delay_alu instid0(VALU_DEP_1)
	v_dual_cndmask_b32 v7, v2, v8 :: v_dual_mov_b32 v8, v1
.LBB0_6:                                ;   in Loop: Header=BB0_2 Depth=1
	s_or_b32 exec_lo, exec_lo, s2
	s_load_b64 s[2:3], s[12:13], 0x0
	s_delay_alu instid0(VALU_DEP_1) | instskip(NEXT) | instid1(VALU_DEP_2)
	v_mul_lo_u32 v2, v8, s18
	v_mul_lo_u32 v11, v7, s19
	v_mad_u64_u32 v[9:10], null, v7, s18, 0
	s_add_u32 s16, s16, 1
	s_addc_u32 s17, s17, 0
	s_add_u32 s12, s12, 8
	s_addc_u32 s13, s13, 0
	;; [unrolled: 2-line block ×3, first 2 shown]
	s_delay_alu instid0(VALU_DEP_1) | instskip(SKIP_1) | instid1(VALU_DEP_2)
	v_add3_u32 v2, v10, v11, v2
	v_sub_co_u32 v9, vcc_lo, v5, v9
	v_sub_co_ci_u32_e32 v2, vcc_lo, v6, v2, vcc_lo
	s_waitcnt lgkmcnt(0)
	s_delay_alu instid0(VALU_DEP_2) | instskip(NEXT) | instid1(VALU_DEP_2)
	v_mul_lo_u32 v10, s3, v9
	v_mul_lo_u32 v2, s2, v2
	v_mad_u64_u32 v[5:6], null, s2, v9, v[3:4]
	v_cmp_ge_u64_e64 s2, s[16:17], s[6:7]
	s_delay_alu instid0(VALU_DEP_1) | instskip(NEXT) | instid1(VALU_DEP_2)
	s_and_b32 vcc_lo, exec_lo, s2
	v_add3_u32 v4, v10, v6, v2
	s_delay_alu instid0(VALU_DEP_3)
	v_mov_b32_e32 v3, v5
	s_cbranch_vccnz .LBB0_9
; %bb.7:                                ;   in Loop: Header=BB0_2 Depth=1
	v_dual_mov_b32 v5, v7 :: v_dual_mov_b32 v6, v8
	s_branch .LBB0_2
.LBB0_8:
	v_dual_mov_b32 v8, v6 :: v_dual_mov_b32 v7, v5
.LBB0_9:
	s_lshl_b64 s[2:3], s[6:7], 3
	v_mul_hi_u32 v1, 0x1c71c72, v0
	s_add_u32 s2, s10, s2
	s_addc_u32 s3, s11, s3
	s_load_b64 s[0:1], s[0:1], 0x20
	s_load_b64 s[2:3], s[2:3], 0x0
	s_delay_alu instid0(VALU_DEP_1) | instskip(NEXT) | instid1(VALU_DEP_1)
	v_mul_u32_u24_e32 v1, 0x90, v1
	v_sub_nc_u32_e32 v88, v0, v1
	s_delay_alu instid0(VALU_DEP_1)
	v_add_nc_u32_e32 v90, 0x90, v88
	v_add_nc_u32_e32 v99, 0x120, v88
	;; [unrolled: 1-line block ×5, first 2 shown]
	s_waitcnt lgkmcnt(0)
	v_cmp_gt_u64_e32 vcc_lo, s[0:1], v[7:8]
	v_mul_lo_u32 v2, s2, v8
	v_mul_lo_u32 v5, s3, v7
	v_mad_u64_u32 v[0:1], null, s2, v7, v[3:4]
	v_cmp_le_u64_e64 s0, s[0:1], v[7:8]
	s_delay_alu instid0(VALU_DEP_2) | instskip(NEXT) | instid1(VALU_DEP_2)
	v_add3_u32 v1, v5, v1, v2
	s_and_saveexec_b32 s1, s0
	s_delay_alu instid0(SALU_CYCLE_1)
	s_xor_b32 s0, exec_lo, s1
; %bb.10:
	v_add_nc_u32_e32 v90, 0x90, v88
	v_add_nc_u32_e32 v99, 0x120, v88
	;; [unrolled: 1-line block ×5, first 2 shown]
; %bb.11:
	s_or_saveexec_b32 s1, s0
	v_lshlrev_b64 v[94:95], 4, v[0:1]
	v_or_b32_e32 v92, 0x900, v88
	s_xor_b32 exec_lo, exec_lo, s1
	s_cbranch_execz .LBB0_13
; %bb.12:
	v_mov_b32_e32 v89, 0
	s_delay_alu instid0(VALU_DEP_3) | instskip(NEXT) | instid1(VALU_DEP_1)
	v_add_co_u32 v14, s0, s8, v94
	v_add_co_ci_u32_e64 v15, s0, s9, v95, s0
	s_delay_alu instid0(VALU_DEP_3) | instskip(SKIP_2) | instid1(VALU_DEP_2)
	v_lshlrev_b64 v[0:1], 4, v[88:89]
	v_mov_b32_e32 v93, v89
	v_lshl_add_u32 v89, v88, 4, 0
	v_lshlrev_b64 v[12:13], 4, v[92:93]
	s_delay_alu instid0(VALU_DEP_4) | instskip(NEXT) | instid1(VALU_DEP_1)
	v_add_co_u32 v100, s0, v14, v0
	v_add_co_ci_u32_e64 v101, s0, v15, v1, s0
	s_delay_alu instid0(VALU_DEP_2) | instskip(NEXT) | instid1(VALU_DEP_1)
	v_add_co_u32 v8, s0, 0x1000, v100
	v_add_co_ci_u32_e64 v9, s0, 0, v101, s0
	v_add_co_u32 v16, s0, 0x2000, v100
	s_delay_alu instid0(VALU_DEP_1) | instskip(SKIP_1) | instid1(VALU_DEP_1)
	v_add_co_ci_u32_e64 v17, s0, 0, v101, s0
	v_add_co_u32 v24, s0, 0x3000, v100
	v_add_co_ci_u32_e64 v25, s0, 0, v101, s0
	v_add_co_u32 v28, s0, 0x4000, v100
	s_delay_alu instid0(VALU_DEP_1) | instskip(SKIP_1) | instid1(VALU_DEP_1)
	v_add_co_ci_u32_e64 v29, s0, 0, v101, s0
	;; [unrolled: 5-line block ×6, first 2 shown]
	v_add_co_u32 v104, s0, 0xc000, v100
	v_add_co_ci_u32_e64 v105, s0, 0, v101, s0
	s_clause 0x17
	global_load_b128 v[0:3], v[100:101], off offset:2304
	global_load_b128 v[4:7], v[8:9], off offset:512
	;; [unrolled: 1-line block ×15, first 2 shown]
	global_load_b128 v[60:63], v[60:61], off
	global_load_b128 v[64:67], v[64:65], off offset:2304
	global_load_b128 v[68:71], v[72:73], off offset:512
	;; [unrolled: 1-line block ×6, first 2 shown]
	global_load_b128 v[100:103], v[100:101], off
	global_load_b128 v[104:107], v[104:105], off offset:3840
	s_waitcnt vmcnt(23)
	ds_store_b128 v89, v[0:3] offset:2304
	s_waitcnt vmcnt(22)
	ds_store_b128 v89, v[4:7] offset:4608
	;; [unrolled: 2-line block ×22, first 2 shown]
	s_waitcnt vmcnt(1)
	ds_store_b128 v89, v[100:103]
	s_waitcnt vmcnt(0)
	ds_store_b128 v89, v[104:107] offset:52992
.LBB0_13:
	s_or_b32 exec_lo, exec_lo, s1
	v_lshlrev_b32_e32 v89, 4, v88
	s_waitcnt lgkmcnt(0)
	s_barrier
	buffer_gl0_inv
	s_mov_b32 s0, 0xe8584caa
	v_add_nc_u32_e32 v132, 0, v89
	s_mov_b32 s1, 0xbfebb67a
	s_mov_b32 s3, 0x3febb67a
	;; [unrolled: 1-line block ×3, first 2 shown]
	v_and_b32_e32 v136, 0xff, v88
	ds_load_b128 v[0:3], v132 offset:27648
	ds_load_b128 v[4:7], v132 offset:46080
	;; [unrolled: 1-line block ×9, first 2 shown]
	ds_load_b128 v[20:23], v132
	ds_load_b128 v[32:35], v132 offset:52992
	ds_load_b128 v[44:47], v132 offset:34560
	;; [unrolled: 1-line block ×14, first 2 shown]
	v_mul_lo_u16 v91, 0xab, v136
	v_mul_u32_u24_e32 v93, 6, v88
	v_mul_i32_i24_e32 v135, 6, v90
	s_waitcnt lgkmcnt(0)
	s_barrier
	v_lshrrev_b16 v139, 10, v91
	v_add_f64 v[84:85], v[2:3], v[6:7]
	v_add_f64 v[120:121], v[0:1], v[4:5]
	;; [unrolled: 1-line block ×11, first 2 shown]
	v_add_f64 v[0:1], v[0:1], -v[4:5]
	v_add_f64 v[133:134], v[60:61], v[16:17]
	v_add_f64 v[16:17], v[16:17], -v[8:9]
	v_add_f64 v[130:131], v[38:39], v[74:75]
	v_add_f64 v[144:145], v[48:49], v[68:69]
	;; [unrolled: 1-line block ×3, first 2 shown]
	v_add_f64 v[148:149], v[50:51], -v[70:71]
	v_add_f64 v[50:51], v[50:51], v[70:71]
	v_add_f64 v[48:49], v[48:49], -v[68:69]
	v_add_f64 v[12:13], v[12:13], -v[24:25]
	v_add_f64 v[152:153], v[44:45], v[32:33]
	v_add_f64 v[140:141], v[52:53], v[80:81]
	v_add_f64 v[2:3], v[2:3], -v[6:7]
	v_add_f64 v[150:151], v[72:73], v[106:107]
	v_add_f64 v[142:143], v[54:55], v[82:83]
	;; [unrolled: 1-line block ×3, first 2 shown]
	v_add_f64 v[156:157], v[82:83], -v[112:113]
	v_add_f64 v[82:83], v[82:83], v[112:113]
	v_add_f64 v[128:129], v[36:37], v[72:73]
	v_add_f64 v[72:73], v[72:73], -v[106:107]
	v_mul_i32_i24_e32 v91, 6, v99
	buffer_gl0_inv
	v_mul_lo_u16 v136, v136, 57
	v_fma_f64 v[66:67], v[84:85], -0.5, v[66:67]
	v_add_f64 v[84:85], v[62:63], v[18:19]
	v_fma_f64 v[62:63], v[100:101], -0.5, v[62:63]
	v_add_f64 v[100:101], v[78:79], v[14:15]
	v_fma_f64 v[78:79], v[86:87], -0.5, v[78:79]
	v_fma_f64 v[64:65], v[120:121], -0.5, v[64:65]
	v_add_f64 v[68:69], v[114:115], v[68:69]
	v_add_f64 v[70:71], v[116:117], v[70:71]
	v_add_f64 v[114:115], v[44:45], -v[32:33]
	v_fma_f64 v[116:117], v[118:119], -0.5, v[58:59]
	v_fma_f64 v[60:61], v[122:123], -0.5, v[60:61]
	v_add_f64 v[44:45], v[56:57], v[44:45]
	v_add_f64 v[58:59], v[58:59], v[46:47]
	v_add_f64 v[86:87], v[74:75], -v[108:109]
	v_add_f64 v[74:75], v[74:75], v[108:109]
	v_add_f64 v[118:119], v[102:103], v[40:41]
	v_add_f64 v[18:19], v[18:19], -v[10:11]
	v_add_f64 v[120:121], v[80:81], v[110:111]
	v_add_f64 v[14:15], v[14:15], -v[26:27]
	v_fma_f64 v[76:77], v[137:138], -0.5, v[76:77]
	v_add_f64 v[137:138], v[40:41], v[28:29]
	v_add_f64 v[46:47], v[46:47], -v[34:35]
	v_add_f64 v[80:81], v[80:81], -v[110:111]
	v_add_f64 v[4:5], v[124:125], v[4:5]
	v_fma_f64 v[20:21], v[144:145], -0.5, v[20:21]
	v_fma_f64 v[22:23], v[50:51], -0.5, v[22:23]
	;; [unrolled: 1-line block ×3, first 2 shown]
	v_add_f64 v[6:7], v[126:127], v[6:7]
	v_add_f64 v[40:41], v[40:41], -v[28:29]
	v_fma_f64 v[54:55], v[82:83], -0.5, v[54:55]
	v_add_f64 v[106:107], v[128:129], v[106:107]
	v_add_f64 v[112:113], v[142:143], v[112:113]
	;; [unrolled: 1-line block ×3, first 2 shown]
	v_fma_f64 v[122:123], v[0:1], s[2:3], v[66:67]
	v_fma_f64 v[0:1], v[0:1], s[0:1], v[66:67]
	;; [unrolled: 1-line block ×4, first 2 shown]
	v_add_f64 v[66:67], v[42:43], -v[30:31]
	v_add_f64 v[42:43], v[42:43], v[30:31]
	v_fma_f64 v[62:63], v[12:13], s[2:3], v[78:79]
	v_fma_f64 v[12:13], v[12:13], s[0:1], v[78:79]
	v_add_f64 v[78:79], v[130:131], v[108:109]
	v_add_f64 v[108:109], v[133:134], v[8:9]
	v_fma_f64 v[8:9], v[152:153], -0.5, v[56:57]
	v_add_f64 v[56:57], v[84:85], v[10:11]
	v_fma_f64 v[10:11], v[114:115], s[2:3], v[116:117]
	v_add_f64 v[84:85], v[140:141], v[110:111]
	v_fma_f64 v[110:111], v[114:115], s[0:1], v[116:117]
	v_add_f64 v[32:33], v[44:45], v[32:33]
	v_add_f64 v[34:35], v[58:59], v[34:35]
	v_fma_f64 v[44:45], v[2:3], s[0:1], v[64:65]
	v_add_f64 v[26:27], v[100:101], v[26:27]
	v_fma_f64 v[38:39], v[74:75], -0.5, v[38:39]
	v_fma_f64 v[64:65], v[2:3], s[2:3], v[64:65]
	v_add_f64 v[28:29], v[118:119], v[28:29]
	v_fma_f64 v[114:115], v[18:19], s[0:1], v[60:61]
	v_fma_f64 v[18:19], v[18:19], s[2:3], v[60:61]
	v_fma_f64 v[52:53], v[120:121], -0.5, v[52:53]
	v_fma_f64 v[82:83], v[137:138], -0.5, v[102:103]
	v_fma_f64 v[102:103], v[14:15], s[0:1], v[76:77]
	v_fma_f64 v[14:15], v[14:15], s[2:3], v[76:77]
	v_add_f64 v[30:31], v[154:155], v[30:31]
	v_fma_f64 v[128:129], v[48:49], s[2:3], v[22:23]
	v_fma_f64 v[130:131], v[86:87], s[0:1], v[36:37]
	;; [unrolled: 1-line block ×3, first 2 shown]
	v_add_f64 v[2:3], v[70:71], v[6:7]
	v_add_f64 v[6:7], v[70:71], -v[6:7]
	v_fma_f64 v[70:71], v[148:149], s[2:3], v[20:21]
	v_fma_f64 v[48:49], v[48:49], s[0:1], v[22:23]
	v_mul_f64 v[50:51], v[122:123], s[0:1]
	v_mul_f64 v[58:59], v[122:123], 0.5
	v_mul_f64 v[74:75], v[0:1], s[0:1]
	v_mul_f64 v[100:101], v[0:1], -0.5
	v_mul_f64 v[116:117], v[158:159], s[0:1]
	v_mul_f64 v[118:119], v[158:159], 0.5
	v_mul_f64 v[60:61], v[16:17], s[0:1]
	v_mul_f64 v[16:17], v[16:17], -0.5
	v_mul_f64 v[120:121], v[62:63], s[0:1]
	v_mul_f64 v[62:63], v[62:63], 0.5
	v_fma_f64 v[42:43], v[42:43], -0.5, v[104:105]
	v_fma_f64 v[104:105], v[46:47], s[0:1], v[8:9]
	v_mul_f64 v[122:123], v[10:11], s[0:1]
	v_mul_f64 v[124:125], v[10:11], 0.5
	v_mul_f64 v[76:77], v[12:13], s[0:1]
	v_mul_f64 v[12:13], v[12:13], -0.5
	v_fma_f64 v[46:47], v[46:47], s[2:3], v[8:9]
	v_mul_f64 v[126:127], v[110:111], s[0:1]
	v_mul_f64 v[110:111], v[110:111], -0.5
	v_add_f64 v[0:1], v[68:69], v[4:5]
	v_add_f64 v[4:5], v[68:69], -v[4:5]
	v_fma_f64 v[68:69], v[148:149], s[0:1], v[20:21]
	v_add_f64 v[20:21], v[84:85], -v[24:25]
	v_add_f64 v[22:23], v[112:113], -v[26:27]
	v_fma_f64 v[133:134], v[156:157], s[2:3], v[52:53]
	v_fma_f64 v[137:138], v[66:67], s[0:1], v[82:83]
	;; [unrolled: 1-line block ×3, first 2 shown]
	v_add_f64 v[8:9], v[106:107], v[108:109]
	v_add_f64 v[10:11], v[78:79], v[56:57]
	v_fma_f64 v[36:37], v[44:45], 0.5, v[50:51]
	v_fma_f64 v[44:45], v[44:45], s[2:3], v[58:59]
	v_fma_f64 v[50:51], v[64:65], -0.5, v[74:75]
	v_fma_f64 v[58:59], v[64:65], s[2:3], v[100:101]
	v_fma_f64 v[64:65], v[72:73], s[2:3], v[38:39]
	v_fma_f64 v[74:75], v[114:115], 0.5, v[116:117]
	v_fma_f64 v[100:101], v[114:115], s[2:3], v[118:119]
	v_fma_f64 v[72:73], v[72:73], s[0:1], v[38:39]
	v_fma_f64 v[60:61], v[18:19], -0.5, v[60:61]
	v_fma_f64 v[118:119], v[18:19], s[2:3], v[16:17]
	v_fma_f64 v[116:117], v[80:81], s[2:3], v[54:55]
	v_fma_f64 v[120:121], v[102:103], 0.5, v[120:121]
	v_fma_f64 v[102:103], v[102:103], s[2:3], v[62:63]
	v_fma_f64 v[142:143], v[40:41], s[2:3], v[42:43]
	v_fma_f64 v[122:123], v[104:105], 0.5, v[122:123]
	v_fma_f64 v[104:105], v[104:105], s[2:3], v[124:125]
	v_fma_f64 v[80:81], v[80:81], s[0:1], v[54:55]
	;; [unrolled: 1-line block ×4, first 2 shown]
	v_fma_f64 v[124:125], v[46:47], -0.5, v[126:127]
	v_fma_f64 v[110:111], v[46:47], s[2:3], v[110:111]
	v_fma_f64 v[114:115], v[156:157], s[0:1], v[52:53]
	v_fma_f64 v[76:77], v[14:15], -0.5, v[76:77]
	v_add_f64 v[16:17], v[84:85], v[24:25]
	v_add_f64 v[18:19], v[112:113], v[26:27]
	;; [unrolled: 1-line block ×4, first 2 shown]
	v_add_f64 v[28:29], v[28:29], -v[32:33]
	v_add_f64 v[30:31], v[30:31], -v[34:35]
	;; [unrolled: 1-line block ×4, first 2 shown]
	v_mul_lo_u16 v108, v139, 6
	v_mul_i32_i24_e32 v109, 6, v98
	v_and_b32_e32 v139, 0xffff, v139
	v_add_f64 v[32:33], v[68:69], v[36:37]
	v_add_f64 v[34:35], v[128:129], v[44:45]
	;; [unrolled: 1-line block ×4, first 2 shown]
	v_add_f64 v[36:37], v[68:69], -v[36:37]
	v_add_f64 v[38:39], v[128:129], -v[44:45]
	;; [unrolled: 1-line block ×4, first 2 shown]
	v_add_f64 v[48:49], v[130:131], v[74:75]
	v_add_f64 v[50:51], v[64:65], v[100:101]
	;; [unrolled: 1-line block ×4, first 2 shown]
	v_add_f64 v[52:53], v[130:131], -v[74:75]
	v_add_f64 v[54:55], v[64:65], -v[100:101]
	v_add_f64 v[66:67], v[116:117], v[102:103]
	v_add_f64 v[70:71], v[116:117], -v[102:103]
	v_add_f64 v[100:101], v[137:138], -v[122:123]
	v_add_f64 v[102:103], v[142:143], -v[104:105]
	v_add_f64 v[60:61], v[86:87], -v[60:61]
	v_add_f64 v[62:63], v[72:73], -v[118:119]
	v_add_f64 v[74:75], v[80:81], v[140:141]
	v_add_f64 v[78:79], v[80:81], -v[140:141]
	v_add_f64 v[80:81], v[137:138], v[122:123]
	v_add_f64 v[82:83], v[142:143], v[104:105]
	v_add_f64 v[104:105], v[144:145], -v[124:125]
	v_add_f64 v[106:107], v[146:147], -v[110:111]
	v_add_f64 v[84:85], v[144:145], v[124:125]
	v_add_f64 v[86:87], v[146:147], v[110:111]
	;; [unrolled: 1-line block ×4, first 2 shown]
	v_add_f64 v[68:69], v[114:115], -v[120:121]
	v_add_f64 v[76:77], v[133:134], -v[76:77]
	v_lshl_add_u32 v133, v91, 4, 0
	v_sub_nc_u16 v91, v88, v108
	v_lshl_add_u32 v110, v93, 4, 0
	v_lshl_add_u32 v134, v135, 4, 0
	;; [unrolled: 1-line block ×3, first 2 shown]
	ds_store_b128 v110, v[0:3]
	ds_store_b128 v110, v[32:35] offset:16
	ds_store_b128 v110, v[4:7] offset:48
	ds_store_b128 v110, v[40:43] offset:32
	ds_store_b128 v110, v[36:39] offset:64
	ds_store_b128 v110, v[44:47] offset:80
	ds_store_b128 v134, v[8:11]
	ds_store_b128 v134, v[48:51] offset:16
	ds_store_b128 v134, v[56:59] offset:32
	ds_store_b128 v134, v[12:15] offset:48
	ds_store_b128 v134, v[52:55] offset:64
	ds_store_b128 v134, v[60:63] offset:80
	ds_store_b128 v133, v[16:19]
	ds_store_b128 v133, v[64:67] offset:16
	ds_store_b128 v133, v[72:75] offset:32
	ds_store_b128 v133, v[20:23] offset:48
	ds_store_b128 v133, v[68:71] offset:64
	ds_store_b128 v133, v[76:79] offset:80
	v_and_b32_e32 v143, 0xff, v91
	ds_store_b128 v93, v[24:27]
	ds_store_b128 v93, v[80:83] offset:16
	ds_store_b128 v93, v[84:87] offset:32
	;; [unrolled: 1-line block ×3, first 2 shown]
	v_mul_u32_u24_e32 v0, 5, v143
	ds_store_b128 v93, v[100:103] offset:64
	ds_store_b128 v93, v[104:107] offset:80
	s_waitcnt lgkmcnt(0)
	s_barrier
	buffer_gl0_inv
	v_lshlrev_b32_e32 v0, 4, v0
	s_clause 0x1
	global_load_b128 v[16:19], v0, s[4:5]
	global_load_b128 v[12:15], v0, s[4:5] offset:16
	v_and_b32_e32 v140, 0xffff, v90
	s_clause 0x2
	global_load_b128 v[24:27], v0, s[4:5] offset:32
	global_load_b128 v[28:31], v0, s[4:5] offset:48
	;; [unrolled: 1-line block ×3, first 2 shown]
	v_and_b32_e32 v141, 0xffff, v99
	v_and_b32_e32 v142, 0xffff, v98
	v_mul_u32_u24_e32 v1, 0xaaab, v140
	v_lshl_add_u32 v135, v97, 4, 0
	v_mad_i32_i24 v91, 0xffffffb0, v90, v134
	s_delay_alu instid0(VALU_DEP_3) | instskip(NEXT) | instid1(VALU_DEP_1)
	v_lshrrev_b32_e32 v146, 18, v1
	v_mul_lo_u16 v1, v146, 6
	v_mul_u32_u24_e32 v146, 0x240, v146
	s_delay_alu instid0(VALU_DEP_2) | instskip(SKIP_1) | instid1(VALU_DEP_2)
	v_sub_nc_u16 v0, v90, v1
	v_mul_u32_u24_e32 v1, 0xaaab, v141
	v_and_b32_e32 v144, 0xffff, v0
	s_delay_alu instid0(VALU_DEP_2) | instskip(NEXT) | instid1(VALU_DEP_2)
	v_lshrrev_b32_e32 v148, 18, v1
	v_mul_u32_u24_e32 v0, 5, v144
	s_delay_alu instid0(VALU_DEP_2) | instskip(NEXT) | instid1(VALU_DEP_2)
	v_mul_lo_u16 v1, v148, 6
	v_lshlrev_b32_e32 v0, 4, v0
	s_clause 0x4
	global_load_b128 v[36:39], v0, s[4:5]
	global_load_b128 v[32:35], v0, s[4:5] offset:16
	global_load_b128 v[48:51], v0, s[4:5] offset:32
	;; [unrolled: 1-line block ×4, first 2 shown]
	v_sub_nc_u16 v0, v99, v1
	v_mul_u32_u24_e32 v1, 0xaaab, v142
	s_delay_alu instid0(VALU_DEP_2) | instskip(NEXT) | instid1(VALU_DEP_2)
	v_and_b32_e32 v145, 0xffff, v0
	v_lshrrev_b32_e32 v149, 18, v1
	s_delay_alu instid0(VALU_DEP_2) | instskip(NEXT) | instid1(VALU_DEP_2)
	v_mul_u32_u24_e32 v0, 5, v145
	v_mul_lo_u16 v1, v149, 6
	s_delay_alu instid0(VALU_DEP_2)
	v_lshlrev_b32_e32 v0, 4, v0
	s_clause 0x1
	global_load_b128 v[68:71], v0, s[4:5] offset:16
	global_load_b128 v[64:67], v0, s[4:5] offset:32
	v_sub_nc_u16 v1, v98, v1
	s_clause 0x1
	global_load_b128 v[76:79], v0, s[4:5] offset:48
	global_load_b128 v[80:83], v0, s[4:5] offset:64
	v_and_b32_e32 v147, 0xffff, v1
	s_delay_alu instid0(VALU_DEP_1) | instskip(NEXT) | instid1(VALU_DEP_1)
	v_mul_u32_u24_e32 v1, 5, v147
	v_lshlrev_b32_e32 v1, 4, v1
	s_clause 0x5
	global_load_b128 v[72:75], v1, s[4:5] offset:32
	global_load_b128 v[8:11], v1, s[4:5] offset:64
	;; [unrolled: 1-line block ×3, first 2 shown]
	global_load_b128 v[4:7], v0, s[4:5]
	global_load_b128 v[60:63], v1, s[4:5] offset:48
	global_load_b128 v[0:3], v1, s[4:5]
	ds_load_b128 v[100:103], v135
	ds_load_b128 v[108:111], v132 offset:18432
	ds_load_b128 v[40:43], v91
	ds_load_b128 v[44:47], v132 offset:16128
	ds_load_b128 v[112:115], v132 offset:27648
	ds_load_b128 v[116:119], v132 offset:36864
	ds_load_b128 v[122:125], v132 offset:46080
	ds_load_b128 v[126:129], v132 offset:25344
	ds_load_b128 v[150:153], v132 offset:34560
	ds_load_b128 v[154:157], v132 offset:43776
	ds_load_b128 v[158:161], v132 offset:20736
	ds_load_b128 v[162:165], v132 offset:23040
	s_waitcnt vmcnt(19) lgkmcnt(11)
	v_mul_f64 v[104:105], v[102:103], v[18:19]
	s_waitcnt vmcnt(18) lgkmcnt(10)
	v_mul_f64 v[106:107], v[110:111], v[14:15]
	v_mul_f64 v[14:15], v[108:109], v[14:15]
	;; [unrolled: 1-line block ×3, first 2 shown]
	s_waitcnt vmcnt(16) lgkmcnt(6)
	v_mul_f64 v[130:131], v[118:119], v[30:31]
	v_mul_f64 v[137:138], v[116:117], v[30:31]
	;; [unrolled: 1-line block ×4, first 2 shown]
	s_waitcnt vmcnt(15) lgkmcnt(5)
	v_mul_f64 v[166:167], v[124:125], v[22:23]
	v_mul_f64 v[22:23], v[122:123], v[22:23]
	v_fma_f64 v[104:105], v[100:101], v[16:17], v[104:105]
	v_fma_f64 v[108:109], v[108:109], v[12:13], v[106:107]
	v_fma_f64 v[30:31], v[110:111], v[12:13], -v[14:15]
	ds_load_b128 v[12:15], v132 offset:11520
	v_fma_f64 v[100:101], v[102:103], v[16:17], -v[18:19]
	ds_load_b128 v[16:19], v132 offset:13824
	v_fma_f64 v[120:121], v[112:113], v[24:25], v[120:121]
	v_fma_f64 v[102:103], v[114:115], v[24:25], -v[26:27]
	v_fma_f64 v[114:115], v[116:117], v[28:29], v[130:131]
	v_fma_f64 v[116:117], v[122:123], v[20:21], v[166:167]
	v_fma_f64 v[26:27], v[124:125], v[20:21], -v[22:23]
	ds_load_b128 v[20:23], v132 offset:29952
	ds_load_b128 v[122:125], v132 offset:32256
	v_fma_f64 v[24:25], v[118:119], v[28:29], -v[137:138]
	s_waitcnt vmcnt(13) lgkmcnt(5)
	v_mul_f64 v[28:29], v[160:161], v[34:35]
	v_mul_f64 v[34:35], v[158:159], v[34:35]
	s_waitcnt lgkmcnt(3)
	v_mul_f64 v[106:107], v[14:15], v[38:39]
	v_mul_f64 v[38:39], v[12:13], v[38:39]
	s_waitcnt vmcnt(12) lgkmcnt(1)
	v_mul_f64 v[112:113], v[20:21], v[50:51]
	s_waitcnt vmcnt(5)
	v_mul_f64 v[137:138], v[152:153], v[74:75]
	s_waitcnt vmcnt(2)
	v_mul_f64 v[130:131], v[16:17], v[6:7]
	v_fma_f64 v[106:107], v[12:13], v[36:37], v[106:107]
	v_fma_f64 v[110:111], v[14:15], v[36:37], -v[38:39]
	ds_load_b128 v[12:15], v132 offset:39168
	v_mul_f64 v[36:37], v[22:23], v[50:51]
	v_fma_f64 v[50:51], v[158:159], v[32:33], v[28:29]
	v_fma_f64 v[38:39], v[160:161], v[32:33], -v[34:35]
	ds_load_b128 v[158:161], v132 offset:41472
	v_fma_f64 v[112:113], v[22:23], v[48:49], -v[112:113]
	s_waitcnt lgkmcnt(1)
	v_mul_f64 v[28:29], v[14:15], v[54:55]
	v_mul_f64 v[32:33], v[12:13], v[54:55]
	s_waitcnt lgkmcnt(0)
	v_mul_f64 v[54:55], v[160:161], v[78:79]
	v_fma_f64 v[118:119], v[20:21], v[48:49], v[36:37]
	ds_load_b128 v[20:23], v132 offset:48384
	ds_load_b128 v[166:169], v132 offset:50688
	v_mul_f64 v[48:49], v[164:165], v[70:71]
	v_fma_f64 v[28:29], v[12:13], v[52:53], v[28:29]
	v_fma_f64 v[32:33], v[14:15], v[52:53], -v[32:33]
	s_waitcnt lgkmcnt(1)
	v_mul_f64 v[12:13], v[22:23], v[58:59]
	v_mul_f64 v[14:15], v[20:21], v[58:59]
	v_mul_f64 v[52:53], v[162:163], v[70:71]
	s_delay_alu instid0(VALU_DEP_3) | instskip(NEXT) | instid1(VALU_DEP_3)
	v_fma_f64 v[34:35], v[20:21], v[56:57], v[12:13]
	v_fma_f64 v[36:37], v[22:23], v[56:57], -v[14:15]
	v_mul_f64 v[12:13], v[124:125], v[66:67]
	v_mul_f64 v[14:15], v[122:123], v[66:67]
	ds_load_b128 v[20:23], v132 offset:52992
	v_mul_f64 v[56:57], v[158:159], v[78:79]
	s_waitcnt lgkmcnt(1)
	v_mul_f64 v[78:79], v[166:167], v[82:83]
	v_fma_f64 v[66:67], v[162:163], v[68:69], v[48:49]
	v_fma_f64 v[58:59], v[164:165], v[68:69], -v[52:53]
	v_mul_f64 v[68:69], v[168:169], v[82:83]
	v_mul_f64 v[82:83], v[150:151], v[74:75]
	v_fma_f64 v[48:49], v[158:159], v[76:77], v[54:55]
	s_waitcnt vmcnt(1)
	v_mul_f64 v[158:159], v[156:157], v[62:63]
	v_mul_f64 v[74:75], v[18:19], v[6:7]
	v_fma_f64 v[18:19], v[18:19], v[4:5], -v[130:131]
	v_fma_f64 v[6:7], v[150:151], v[72:73], v[137:138]
	v_mad_i32_i24 v137, 0xffffffb0, v99, v133
	v_lshrrev_b16 v138, 11, v136
	v_mad_i32_i24 v136, 0xffffffb0, v98, v93
	v_mul_u32_u24_e32 v162, 0x240, v148
	v_mul_u32_u24_e32 v163, 0x240, v149
	;; [unrolled: 1-line block ×3, first 2 shown]
	v_fma_f64 v[70:71], v[122:123], v[64:65], v[12:13]
	v_fma_f64 v[64:65], v[124:125], v[64:65], -v[14:15]
	ds_load_b128 v[12:15], v132
	s_waitcnt lgkmcnt(1)
	v_mul_f64 v[122:123], v[20:21], v[10:11]
	v_mul_f64 v[124:125], v[128:129], v[86:87]
	;; [unrolled: 1-line block ×3, first 2 shown]
	v_fma_f64 v[54:55], v[168:169], v[80:81], -v[78:79]
	v_fma_f64 v[52:53], v[160:161], v[76:77], -v[56:57]
	v_mul_f64 v[160:161], v[154:155], v[62:63]
	v_mul_f64 v[78:79], v[22:23], v[10:11]
	s_waitcnt vmcnt(0)
	v_mul_f64 v[76:77], v[44:45], v[2:3]
	v_fma_f64 v[62:63], v[152:153], v[72:73], -v[82:83]
	v_mul_f64 v[2:3], v[46:47], v[2:3]
	v_add_f64 v[82:83], v[102:103], v[26:27]
	v_fma_f64 v[56:57], v[166:167], v[80:81], v[68:69]
	v_add_f64 v[80:81], v[108:109], v[114:115]
	v_fma_f64 v[72:73], v[154:155], v[60:61], v[158:159]
	;; [unrolled: 2-line block ×3, first 2 shown]
	v_add_f64 v[154:155], v[118:119], -v[34:35]
	s_waitcnt lgkmcnt(0)
	v_add_f64 v[150:151], v[12:13], v[108:109]
	v_add_f64 v[108:109], v[108:109], -v[114:115]
	v_fma_f64 v[10:11], v[22:23], v[8:9], -v[122:123]
	v_fma_f64 v[22:23], v[126:127], v[84:85], v[124:125]
	v_fma_f64 v[68:69], v[128:129], v[84:85], -v[86:87]
	v_add_f64 v[86:87], v[112:113], v[36:37]
	v_add_f64 v[130:131], v[64:65], v[54:55]
	v_fma_f64 v[60:61], v[156:157], v[60:61], -v[160:161]
	v_fma_f64 v[8:9], v[20:21], v[8:9], v[78:79]
	v_add_f64 v[20:21], v[104:105], v[120:121]
	v_fma_f64 v[46:47], v[46:47], v[0:1], -v[76:77]
	v_add_f64 v[84:85], v[30:31], v[24:25]
	v_add_f64 v[126:127], v[50:51], v[28:29]
	;; [unrolled: 1-line block ×5, first 2 shown]
	v_fma_f64 v[16:17], v[44:45], v[0:1], v[2:3]
	v_add_f64 v[44:45], v[120:121], -v[116:117]
	v_add_f64 v[120:121], v[118:119], v[34:35]
	v_fma_f64 v[82:83], v[82:83], -0.5, v[100:101]
	v_fma_f64 v[12:13], v[80:81], -0.5, v[12:13]
	v_add_f64 v[156:157], v[70:71], v[56:57]
	v_add_f64 v[158:159], v[70:71], -v[56:57]
	ds_load_b128 v[74:77], v137
	ds_load_b128 v[0:3], v136
	v_add_f64 v[114:115], v[150:151], v[114:115]
	v_fma_f64 v[104:105], v[152:153], -0.5, v[104:105]
	v_add_f64 v[100:101], v[100:101], v[102:103]
	v_add_f64 v[118:119], v[106:107], v[118:119]
	v_add_f64 v[102:103], v[102:103], -v[26:27]
	v_add_f64 v[70:71], v[4:5], v[70:71]
	v_mul_lo_u16 v160, v138, 36
	s_waitcnt lgkmcnt(0)
	s_barrier
	buffer_gl0_inv
	v_and_b32_e32 v138, 0xffff, v138
	v_sub_nc_u16 v164, v88, v160
	v_add_f64 v[78:79], v[62:63], v[10:11]
	s_delay_alu instid0(VALU_DEP_2)
	v_and_b32_e32 v139, 0xff, v164
	v_fma_f64 v[80:81], v[86:87], -0.5, v[110:111]
	v_fma_f64 v[86:87], v[130:131], -0.5, v[18:19]
	v_add_f64 v[152:153], v[68:69], v[60:61]
	v_add_f64 v[150:151], v[6:7], v[8:9]
	;; [unrolled: 1-line block ×3, first 2 shown]
	v_add_f64 v[116:117], v[6:7], -v[8:9]
	v_fma_f64 v[84:85], v[84:85], -0.5, v[14:15]
	v_add_f64 v[14:15], v[14:15], v[30:31]
	v_add_f64 v[130:131], v[40:41], v[50:51]
	v_fma_f64 v[40:41], v[126:127], -0.5, v[40:41]
	v_fma_f64 v[126:127], v[128:129], -0.5, v[42:43]
	v_add_f64 v[42:43], v[42:43], v[38:39]
	v_add_f64 v[128:129], v[74:75], v[66:67]
	v_fma_f64 v[74:75], v[122:123], -0.5, v[74:75]
	;; [unrolled: 4-line block ×3, first 2 shown]
	v_fma_f64 v[120:121], v[44:45], s[2:3], v[82:83]
	v_add_f64 v[18:19], v[18:19], v[64:65]
	v_fma_f64 v[44:45], v[44:45], s[0:1], v[82:83]
	v_add_f64 v[82:83], v[0:1], v[22:23]
	v_add_f64 v[112:113], v[112:113], -v[36:37]
	v_fma_f64 v[4:5], v[156:157], -0.5, v[4:5]
	v_add_f64 v[64:65], v[64:65], -v[54:55]
	v_add_f64 v[124:125], v[22:23], v[72:73]
	v_add_f64 v[6:7], v[16:17], v[6:7]
	;; [unrolled: 1-line block ×3, first 2 shown]
	v_add_f64 v[30:31], v[30:31], -v[24:25]
	v_add_f64 v[50:51], v[50:51], -v[28:29]
	;; [unrolled: 1-line block ×7, first 2 shown]
	v_fma_f64 v[78:79], v[78:79], -0.5, v[46:47]
	v_add_f64 v[46:47], v[46:47], v[62:63]
	v_add_f64 v[62:63], v[62:63], -v[10:11]
	v_fma_f64 v[148:149], v[154:155], s[2:3], v[80:81]
	v_fma_f64 v[80:81], v[154:155], s[0:1], v[80:81]
	;; [unrolled: 1-line block ×4, first 2 shown]
	v_fma_f64 v[16:17], v[150:151], -0.5, v[16:17]
	v_fma_f64 v[152:153], v[152:153], -0.5, v[2:3]
	v_add_f64 v[14:15], v[14:15], v[24:25]
	v_add_f64 v[24:25], v[100:101], v[26:27]
	;; [unrolled: 1-line block ×9, first 2 shown]
	v_fma_f64 v[52:53], v[102:103], s[0:1], v[104:105]
	v_mul_f64 v[56:57], v[120:121], s[0:1]
	v_mul_f64 v[70:71], v[120:121], 0.5
	v_add_f64 v[54:55], v[18:19], v[54:55]
	v_fma_f64 v[18:19], v[102:103], s[2:3], v[104:105]
	v_mul_f64 v[76:77], v[44:45], s[0:1]
	v_mul_f64 v[44:45], v[44:45], -0.5
	v_add_f64 v[72:73], v[82:83], v[72:73]
	v_fma_f64 v[102:103], v[112:113], s[2:3], v[106:107]
	v_fma_f64 v[110:111], v[64:65], s[0:1], v[4:5]
	v_fma_f64 v[64:65], v[64:65], s[2:3], v[4:5]
	v_fma_f64 v[124:125], v[124:125], -0.5, v[0:1]
	v_add_f64 v[0:1], v[114:115], v[20:21]
	v_add_f64 v[4:5], v[114:115], -v[20:21]
	v_fma_f64 v[114:115], v[30:31], s[0:1], v[12:13]
	v_add_f64 v[60:61], v[156:157], v[60:61]
	v_fma_f64 v[150:151], v[116:117], s[2:3], v[78:79]
	v_fma_f64 v[2:3], v[116:117], s[0:1], v[78:79]
	;; [unrolled: 1-line block ×3, first 2 shown]
	v_mul_f64 v[82:83], v[148:149], s[0:1]
	v_mul_f64 v[100:101], v[148:149], 0.5
	v_mul_f64 v[104:105], v[80:81], s[0:1]
	v_mul_f64 v[80:81], v[80:81], -0.5
	v_mul_f64 v[112:113], v[154:155], s[0:1]
	v_mul_f64 v[116:117], v[154:155], 0.5
	v_mul_f64 v[118:119], v[86:87], s[0:1]
	v_mul_f64 v[86:87], v[86:87], -0.5
	v_fma_f64 v[120:121], v[62:63], s[0:1], v[16:17]
	v_fma_f64 v[16:17], v[62:63], s[2:3], v[16:17]
	;; [unrolled: 1-line block ×4, first 2 shown]
	v_add_f64 v[46:47], v[46:47], v[10:11]
	v_fma_f64 v[158:159], v[50:51], s[2:3], v[126:127]
	v_fma_f64 v[156:157], v[38:39], s[2:3], v[40:41]
	v_add_f64 v[106:107], v[6:7], v[8:9]
	v_fma_f64 v[160:161], v[22:23], s[2:3], v[152:153]
	v_add_f64 v[6:7], v[14:15], -v[24:25]
	v_add_f64 v[8:9], v[26:27], v[32:33]
	v_add_f64 v[10:11], v[28:29], v[34:35]
	v_fma_f64 v[56:57], v[52:53], 0.5, v[56:57]
	v_fma_f64 v[52:53], v[52:53], s[2:3], v[70:71]
	v_fma_f64 v[70:71], v[38:39], s[0:1], v[40:41]
	v_add_f64 v[20:21], v[36:37], -v[48:49]
	v_fma_f64 v[76:77], v[18:19], -0.5, v[76:77]
	v_fma_f64 v[108:109], v[18:19], s[2:3], v[44:45]
	v_add_f64 v[18:19], v[42:43], v[54:55]
	v_mul_f64 v[128:129], v[150:151], s[0:1]
	v_mul_f64 v[130:131], v[150:151], 0.5
	v_mul_f64 v[62:63], v[2:3], s[0:1]
	v_mul_f64 v[148:149], v[2:3], -0.5
	v_fma_f64 v[150:151], v[30:31], s[2:3], v[12:13]
	v_fma_f64 v[82:83], v[78:79], 0.5, v[82:83]
	v_fma_f64 v[78:79], v[78:79], s[2:3], v[100:101]
	v_fma_f64 v[100:101], v[50:51], s[0:1], v[126:127]
	v_fma_f64 v[104:105], v[102:103], -0.5, v[104:105]
	v_fma_f64 v[80:81], v[102:103], s[2:3], v[80:81]
	v_fma_f64 v[126:127], v[58:59], s[0:1], v[74:75]
	;; [unrolled: 1-line block ×4, first 2 shown]
	v_fma_f64 v[112:113], v[110:111], 0.5, v[112:113]
	v_fma_f64 v[110:111], v[110:111], s[2:3], v[116:117]
	v_fma_f64 v[116:117], v[66:67], s[0:1], v[122:123]
	v_fma_f64 v[118:119], v[64:65], -0.5, v[118:119]
	v_fma_f64 v[86:87], v[64:65], s[2:3], v[86:87]
	v_fma_f64 v[122:123], v[68:69], s[0:1], v[124:125]
	;; [unrolled: 1-line block ×3, first 2 shown]
	v_add_f64 v[2:3], v[14:15], v[24:25]
	v_add_f64 v[12:13], v[26:27], -v[32:33]
	v_add_f64 v[14:15], v[28:29], -v[34:35]
	v_add_f64 v[32:33], v[114:115], v[56:57]
	v_add_f64 v[34:35], v[154:155], v[52:53]
	v_add_f64 v[38:39], v[154:155], -v[52:53]
	v_add_f64 v[26:27], v[60:61], v[46:47]
	v_add_f64 v[30:31], v[60:61], -v[46:47]
	v_add_f64 v[46:47], v[84:85], -v[108:109]
	v_add_f64 v[24:25], v[72:73], v[106:107]
	v_add_f64 v[28:29], v[72:73], -v[106:107]
	v_fma_f64 v[128:129], v[120:121], 0.5, v[128:129]
	v_fma_f64 v[120:121], v[120:121], s[2:3], v[130:131]
	v_fma_f64 v[130:131], v[22:23], s[0:1], v[152:153]
	v_fma_f64 v[152:153], v[16:17], -0.5, v[62:63]
	v_fma_f64 v[148:149], v[16:17], s[2:3], v[148:149]
	v_add_f64 v[22:23], v[42:43], -v[54:55]
	v_add_f64 v[40:41], v[150:151], v[76:77]
	v_add_f64 v[42:43], v[84:85], v[108:109]
	v_add_f64 v[16:17], v[36:37], v[48:49]
	v_add_f64 v[36:37], v[114:115], -v[56:57]
	v_add_f64 v[44:45], v[150:151], -v[76:77]
	v_add_f64 v[48:49], v[70:71], v[82:83]
	v_add_f64 v[50:51], v[158:159], v[78:79]
	;; [unrolled: 1-line block ×4, first 2 shown]
	v_add_f64 v[52:53], v[70:71], -v[82:83]
	v_add_f64 v[54:55], v[158:159], -v[78:79]
	;; [unrolled: 1-line block ×4, first 2 shown]
	v_add_f64 v[64:65], v[126:127], v[112:113]
	v_add_f64 v[66:67], v[74:75], v[110:111]
	v_add_f64 v[70:71], v[74:75], -v[110:111]
	v_add_f64 v[72:73], v[102:103], v[118:119]
	v_add_f64 v[74:75], v[116:117], v[86:87]
	v_add_f64 v[68:69], v[126:127], -v[112:113]
	v_add_f64 v[76:77], v[102:103], -v[118:119]
	;; [unrolled: 1-line block ×3, first 2 shown]
	v_lshlrev_b32_e32 v108, 4, v143
	v_mul_u32_u24_e32 v112, 5, v139
	v_lshlrev_b32_e32 v109, 4, v144
	v_lshlrev_b32_e32 v110, 4, v145
	;; [unrolled: 1-line block ×3, first 2 shown]
	v_add3_u32 v108, 0, v165, v108
	v_lshlrev_b32_e32 v112, 4, v112
	v_add3_u32 v109, 0, v146, v109
	v_add3_u32 v110, 0, v162, v110
	;; [unrolled: 1-line block ×3, first 2 shown]
	v_add_f64 v[80:81], v[122:123], v[128:129]
	v_add_f64 v[82:83], v[160:161], v[120:121]
	v_add_f64 v[84:85], v[122:123], -v[128:129]
	v_add_f64 v[100:101], v[124:125], v[152:153]
	v_add_f64 v[102:103], v[130:131], v[148:149]
	v_add_f64 v[86:87], v[160:161], -v[120:121]
	v_add_f64 v[104:105], v[124:125], -v[152:153]
	;; [unrolled: 1-line block ×3, first 2 shown]
	ds_store_b128 v108, v[0:3]
	ds_store_b128 v108, v[32:35] offset:96
	ds_store_b128 v108, v[4:7] offset:288
	ds_store_b128 v108, v[40:43] offset:192
	ds_store_b128 v108, v[36:39] offset:384
	ds_store_b128 v108, v[44:47] offset:480
	ds_store_b128 v109, v[8:11]
	ds_store_b128 v109, v[48:51] offset:96
	ds_store_b128 v109, v[56:59] offset:192
	ds_store_b128 v109, v[12:15] offset:288
	ds_store_b128 v109, v[52:55] offset:384
	ds_store_b128 v109, v[60:63] offset:480
	;; [unrolled: 6-line block ×4, first 2 shown]
	s_waitcnt lgkmcnt(0)
	s_barrier
	buffer_gl0_inv
	s_clause 0x2
	global_load_b128 v[20:23], v112, s[4:5] offset:480
	global_load_b128 v[16:19], v112, s[4:5] offset:496
	;; [unrolled: 1-line block ×3, first 2 shown]
	v_mul_u32_u24_e32 v0, 0xe38f, v140
	s_clause 0x1
	global_load_b128 v[30:33], v112, s[4:5] offset:528
	global_load_b128 v[26:29], v112, s[4:5] offset:544
	v_mul_u32_u24_e32 v1, 0xe38f, v141
	v_lshrrev_b32_e32 v143, 21, v0
	s_delay_alu instid0(VALU_DEP_2) | instskip(NEXT) | instid1(VALU_DEP_2)
	v_lshrrev_b32_e32 v144, 21, v1
	v_mul_lo_u16 v0, v143, 36
	v_mul_u32_u24_e32 v164, 0xd80, v143
	s_delay_alu instid0(VALU_DEP_3) | instskip(SKIP_1) | instid1(VALU_DEP_4)
	v_mul_lo_u16 v1, v144, 36
	v_mul_u32_u24_e32 v165, 0xd80, v144
	v_sub_nc_u16 v0, v90, v0
	s_delay_alu instid0(VALU_DEP_1) | instskip(NEXT) | instid1(VALU_DEP_1)
	v_and_b32_e32 v140, 0xffff, v0
	v_mul_u32_u24_e32 v0, 5, v140
	s_delay_alu instid0(VALU_DEP_1)
	v_lshlrev_b32_e32 v0, 4, v0
	s_clause 0x4
	global_load_b128 v[38:41], v0, s[4:5] offset:480
	global_load_b128 v[34:37], v0, s[4:5] offset:496
	global_load_b128 v[42:45], v0, s[4:5] offset:512
	global_load_b128 v[46:49], v0, s[4:5] offset:528
	global_load_b128 v[58:61], v0, s[4:5] offset:544
	v_sub_nc_u16 v0, v99, v1
	v_mul_u32_u24_e32 v1, 0xe38f, v142
	s_delay_alu instid0(VALU_DEP_2) | instskip(NEXT) | instid1(VALU_DEP_2)
	v_and_b32_e32 v141, 0xffff, v0
	v_lshrrev_b32_e32 v145, 21, v1
	s_delay_alu instid0(VALU_DEP_2) | instskip(NEXT) | instid1(VALU_DEP_2)
	v_mul_u32_u24_e32 v0, 5, v141
	v_mul_lo_u16 v1, v145, 36
	v_mul_u32_u24_e32 v166, 0xd80, v145
	s_delay_alu instid0(VALU_DEP_3)
	v_lshlrev_b32_e32 v0, 4, v0
	s_clause 0x1
	global_load_b128 v[66:69], v0, s[4:5] offset:496
	global_load_b128 v[62:65], v0, s[4:5] offset:512
	v_sub_nc_u16 v1, v98, v1
	s_clause 0x1
	global_load_b128 v[74:77], v0, s[4:5] offset:528
	global_load_b128 v[78:81], v0, s[4:5] offset:544
	v_and_b32_e32 v142, 0xffff, v1
	s_delay_alu instid0(VALU_DEP_1) | instskip(NEXT) | instid1(VALU_DEP_1)
	v_mul_u32_u24_e32 v1, 5, v142
	v_lshlrev_b32_e32 v1, 4, v1
	s_clause 0x5
	global_load_b128 v[70:73], v1, s[4:5] offset:512
	global_load_b128 v[54:57], v1, s[4:5] offset:544
	;; [unrolled: 1-line block ×6, first 2 shown]
	ds_load_b128 v[100:103], v135
	ds_load_b128 v[104:107], v132 offset:18432
	ds_load_b128 v[108:111], v132 offset:27648
	ds_load_b128 v[8:11], v91
	s_waitcnt vmcnt(19) lgkmcnt(3)
	v_mul_f64 v[86:87], v[102:103], v[22:23]
	v_mul_f64 v[128:129], v[100:101], v[22:23]
	s_waitcnt vmcnt(18) lgkmcnt(2)
	v_mul_f64 v[130:131], v[106:107], v[18:19]
	v_mul_f64 v[150:151], v[104:105], v[18:19]
	ds_load_b128 v[22:25], v132 offset:16128
	ds_load_b128 v[112:115], v132 offset:36864
	ds_load_b128 v[116:119], v132 offset:46080
	ds_load_b128 v[120:123], v132 offset:25344
	ds_load_b128 v[124:127], v132 offset:34560
	ds_load_b128 v[146:149], v132 offset:43776
	s_waitcnt vmcnt(17) lgkmcnt(7)
	v_mul_f64 v[152:153], v[110:111], v[14:15]
	v_mul_f64 v[154:155], v[108:109], v[14:15]
	s_waitcnt vmcnt(16) lgkmcnt(4)
	v_mul_f64 v[156:157], v[114:115], v[32:33]
	v_mul_f64 v[158:159], v[112:113], v[32:33]
	s_waitcnt vmcnt(15) lgkmcnt(3)
	v_mul_f64 v[160:161], v[118:119], v[28:29]
	v_fma_f64 v[100:101], v[100:101], v[20:21], v[86:87]
	v_fma_f64 v[86:87], v[102:103], v[20:21], -v[128:129]
	ds_load_b128 v[18:21], v132 offset:11520
	v_fma_f64 v[104:105], v[104:105], v[16:17], v[130:131]
	v_fma_f64 v[32:33], v[106:107], v[16:17], -v[150:151]
	ds_load_b128 v[14:17], v132 offset:13824
	v_mul_f64 v[106:107], v[116:117], v[28:29]
	ds_load_b128 v[128:131], v132 offset:20736
	v_fma_f64 v[108:109], v[108:109], v[12:13], v[152:153]
	v_fma_f64 v[102:103], v[110:111], v[12:13], -v[154:155]
	s_waitcnt vmcnt(14) lgkmcnt(2)
	v_mul_f64 v[162:163], v[20:21], v[40:41]
	v_mul_f64 v[40:41], v[18:19], v[40:41]
	v_fma_f64 v[110:111], v[112:113], v[30:31], v[156:157]
	v_fma_f64 v[12:13], v[114:115], v[30:31], -v[158:159]
	ds_load_b128 v[150:153], v132 offset:29952
	ds_load_b128 v[154:157], v132 offset:23040
	s_waitcnt vmcnt(13) lgkmcnt(2)
	v_mul_f64 v[30:31], v[130:131], v[36:37]
	v_mul_f64 v[36:37], v[128:129], v[36:37]
	v_fma_f64 v[28:29], v[116:117], v[26:27], v[160:161]
	ds_load_b128 v[158:161], v132 offset:32256
	v_fma_f64 v[26:27], v[118:119], v[26:27], -v[106:107]
	s_waitcnt vmcnt(12) lgkmcnt(2)
	v_mul_f64 v[114:115], v[152:153], v[44:45]
	s_waitcnt vmcnt(3)
	v_mul_f64 v[118:119], v[122:123], v[84:85]
	v_fma_f64 v[106:107], v[18:19], v[38:39], v[162:163]
	v_fma_f64 v[112:113], v[20:21], v[38:39], -v[40:41]
	ds_load_b128 v[18:21], v132 offset:39168
	v_mul_f64 v[38:39], v[150:151], v[44:45]
	v_add_nc_u32_e32 v162, 0xffffffb8, v88
	v_fma_f64 v[40:41], v[128:129], v[34:35], v[30:31]
	v_fma_f64 v[44:45], v[130:131], v[34:35], -v[36:37]
	ds_load_b128 v[128:131], v132 offset:41472
	s_waitcnt lgkmcnt(1)
	v_mul_f64 v[30:31], v[20:21], v[48:49]
	v_mul_f64 v[34:35], v[18:19], v[48:49]
	v_fma_f64 v[116:117], v[150:151], v[42:43], v[114:115]
	v_mul_f64 v[48:49], v[160:161], v[64:65]
	v_fma_f64 v[114:115], v[152:153], v[42:43], -v[38:39]
	ds_load_b128 v[36:39], v132 offset:48384
	ds_load_b128 v[150:153], v132 offset:50688
	v_fma_f64 v[30:31], v[18:19], v[46:47], v[30:31]
	s_waitcnt lgkmcnt(1)
	v_mul_f64 v[18:19], v[36:37], v[60:61]
	v_fma_f64 v[34:35], v[20:21], v[46:47], -v[34:35]
	v_mul_f64 v[20:21], v[156:157], v[68:69]
	v_mul_f64 v[46:47], v[154:155], v[68:69]
	;; [unrolled: 1-line block ×3, first 2 shown]
	s_waitcnt lgkmcnt(0)
	v_mul_f64 v[68:69], v[152:153], v[80:81]
	v_fma_f64 v[38:39], v[38:39], v[58:59], -v[18:19]
	v_mul_f64 v[18:19], v[158:159], v[64:65]
	v_fma_f64 v[60:61], v[154:155], v[66:67], v[20:21]
	v_fma_f64 v[64:65], v[156:157], v[66:67], -v[46:47]
	ds_load_b128 v[154:157], v132 offset:52992
	v_fma_f64 v[36:37], v[36:37], v[58:59], v[42:43]
	v_mul_f64 v[42:43], v[130:131], v[76:77]
	v_mul_f64 v[58:59], v[128:129], v[76:77]
	;; [unrolled: 1-line block ×3, first 2 shown]
	v_fma_f64 v[66:67], v[158:159], v[62:63], v[48:49]
	v_mul_f64 v[76:77], v[124:125], v[72:73]
	s_waitcnt vmcnt(1)
	v_mul_f64 v[158:159], v[146:147], v[52:53]
	v_fma_f64 v[62:63], v[160:161], v[62:63], -v[18:19]
	ds_load_b128 v[18:21], v132
	s_waitcnt lgkmcnt(1)
	v_mul_f64 v[80:81], v[154:155], v[56:57]
	v_fma_f64 v[48:49], v[128:129], v[74:75], v[42:43]
	v_fma_f64 v[58:59], v[130:131], v[74:75], -v[58:59]
	v_mul_f64 v[74:75], v[120:121], v[84:85]
	v_mul_f64 v[84:85], v[14:15], v[6:7]
	;; [unrolled: 1-line block ×3, first 2 shown]
	v_fma_f64 v[46:47], v[152:153], v[78:79], -v[46:47]
	v_mul_f64 v[130:131], v[156:157], v[56:57]
	v_fma_f64 v[56:57], v[150:151], v[78:79], v[68:69]
	v_mul_f64 v[150:151], v[148:149], v[52:53]
	s_waitcnt vmcnt(0)
	v_mul_f64 v[152:153], v[22:23], v[2:3]
	v_fma_f64 v[52:53], v[126:127], v[70:71], -v[76:77]
	v_mul_f64 v[72:73], v[16:17], v[6:7]
	v_add_f64 v[76:77], v[102:103], v[26:27]
	v_add_f64 v[78:79], v[104:105], v[110:111]
	v_fma_f64 v[6:7], v[120:121], v[82:83], v[118:119]
	v_add_f64 v[126:127], v[32:33], v[12:13]
	v_fma_f64 v[42:43], v[156:157], v[54:55], -v[80:81]
	v_add_f64 v[80:81], v[114:115], v[38:39]
	v_add_f64 v[118:119], v[60:61], v[48:49]
	;; [unrolled: 1-line block ×3, first 2 shown]
	v_fma_f64 v[68:69], v[122:123], v[82:83], -v[74:75]
	v_mul_f64 v[74:75], v[24:25], v[2:3]
	v_fma_f64 v[16:17], v[16:17], v[4:5], -v[84:85]
	v_fma_f64 v[2:3], v[124:125], v[70:71], v[128:129]
	v_add_f64 v[128:129], v[62:63], v[46:47]
	v_add_f64 v[124:125], v[44:45], v[34:35]
	v_fma_f64 v[54:55], v[154:155], v[54:55], v[130:131]
	v_fma_f64 v[82:83], v[24:25], v[0:1], -v[152:153]
	s_waitcnt lgkmcnt(0)
	v_add_f64 v[84:85], v[18:19], v[104:105]
	v_fma_f64 v[70:71], v[146:147], v[50:51], v[150:151]
	v_fma_f64 v[24:25], v[148:149], v[50:51], -v[158:159]
	ds_load_b128 v[146:149], v137
	ds_load_b128 v[150:153], v136
	v_add_f64 v[122:123], v[40:41], v[30:31]
	v_add_f64 v[50:51], v[108:109], v[28:29]
	v_fma_f64 v[4:5], v[14:15], v[4:5], v[72:73]
	v_add_f64 v[14:15], v[108:109], -v[28:29]
	v_add_f64 v[72:73], v[116:117], v[36:37]
	v_fma_f64 v[76:77], v[76:77], -0.5, v[86:87]
	v_add_f64 v[154:155], v[66:67], v[56:57]
	v_add_f64 v[156:157], v[66:67], -v[56:57]
	v_fma_f64 v[18:19], v[78:79], -0.5, v[18:19]
	v_add_f64 v[104:105], v[104:105], -v[110:111]
	v_add_f64 v[108:109], v[100:101], v[108:109]
	v_add_f64 v[86:87], v[86:87], v[102:103]
	v_add_f64 v[102:103], v[102:103], -v[26:27]
	v_mul_u32_u24_e32 v158, 3, v88
	s_waitcnt lgkmcnt(0)
	s_barrier
	buffer_gl0_inv
	v_lshlrev_b32_e32 v163, 4, v158
	v_add_f64 v[130:131], v[52:53], v[42:43]
	v_fma_f64 v[80:81], v[80:81], -0.5, v[112:113]
	v_add_f64 v[112:113], v[112:113], v[114:115]
	v_add_f64 v[114:115], v[114:115], -v[38:39]
	v_fma_f64 v[120:121], v[120:121], -0.5, v[148:149]
	v_fma_f64 v[118:119], v[118:119], -0.5, v[146:147]
	v_fma_f64 v[0:1], v[22:23], v[0:1], v[74:75]
	v_add_f64 v[74:75], v[116:117], -v[36:37]
	v_add_f64 v[22:23], v[20:21], v[32:33]
	v_fma_f64 v[78:79], v[128:129], -0.5, v[16:17]
	v_add_f64 v[128:129], v[10:11], v[44:45]
	v_fma_f64 v[124:125], v[124:125], -0.5, v[10:11]
	v_add_f64 v[10:11], v[148:149], v[64:65]
	v_add_f64 v[148:149], v[2:3], v[54:55]
	;; [unrolled: 1-line block ×3, first 2 shown]
	v_add_f64 v[110:111], v[2:3], -v[54:55]
	v_fma_f64 v[20:21], v[126:127], -0.5, v[20:21]
	v_add_f64 v[126:127], v[8:9], v[40:41]
	v_fma_f64 v[122:123], v[122:123], -0.5, v[8:9]
	v_add_f64 v[8:9], v[146:147], v[60:61]
	;; [unrolled: 2-line block ×3, first 2 shown]
	v_add_f64 v[66:67], v[4:5], v[66:67]
	v_fma_f64 v[72:73], v[72:73], -0.5, v[106:107]
	v_fma_f64 v[106:107], v[14:15], s[2:3], v[76:77]
	v_add_f64 v[16:17], v[16:17], v[62:63]
	v_fma_f64 v[14:15], v[14:15], s[0:1], v[76:77]
	v_add_f64 v[76:77], v[150:151], v[6:7]
	v_fma_f64 v[4:5], v[154:155], -0.5, v[4:5]
	v_add_f64 v[154:155], v[152:153], v[68:69]
	v_add_f64 v[62:63], v[62:63], -v[46:47]
	v_add_f64 v[146:147], v[6:7], v[70:71]
	v_add_f64 v[100:101], v[68:69], v[24:25]
	;; [unrolled: 1-line block ×3, first 2 shown]
	v_add_f64 v[32:33], v[32:33], -v[12:13]
	v_add_f64 v[40:41], v[40:41], -v[30:31]
	;; [unrolled: 1-line block ×4, first 2 shown]
	v_fma_f64 v[130:131], v[130:131], -0.5, v[82:83]
	v_add_f64 v[82:83], v[82:83], v[52:53]
	v_add_f64 v[64:65], v[64:65], -v[58:59]
	v_add_f64 v[68:69], v[68:69], -v[24:25]
	v_add_f64 v[2:3], v[0:1], v[2:3]
	v_fma_f64 v[143:144], v[74:75], s[2:3], v[80:81]
	v_fma_f64 v[74:75], v[74:75], s[0:1], v[80:81]
	v_fma_f64 v[80:81], v[156:157], s[2:3], v[78:79]
	v_fma_f64 v[78:79], v[156:157], s[0:1], v[78:79]
	v_add_f64 v[156:157], v[6:7], -v[70:71]
	v_add_f64 v[6:7], v[52:53], -v[42:43]
	v_fma_f64 v[52:53], v[148:149], -0.5, v[0:1]
	v_add_f64 v[12:13], v[22:23], v[12:13]
	v_add_f64 v[22:23], v[86:87], v[26:27]
	;; [unrolled: 1-line block ×9, first 2 shown]
	v_fma_f64 v[58:59], v[102:103], s[0:1], v[50:51]
	v_mul_f64 v[66:67], v[106:107], s[0:1]
	v_mul_f64 v[86:87], v[106:107], 0.5
	v_add_f64 v[46:47], v[16:17], v[46:47]
	v_fma_f64 v[16:17], v[102:103], s[2:3], v[50:51]
	v_mul_f64 v[50:51], v[14:15], s[0:1]
	v_mul_f64 v[102:103], v[14:15], -0.5
	v_add_f64 v[70:71], v[76:77], v[70:71]
	v_fma_f64 v[76:77], v[114:115], s[0:1], v[72:73]
	v_add_f64 v[116:117], v[154:155], v[24:25]
	v_fma_f64 v[24:25], v[114:115], s[2:3], v[72:73]
	v_fma_f64 v[114:115], v[62:63], s[0:1], v[4:5]
	;; [unrolled: 1-line block ×4, first 2 shown]
	v_add_f64 v[42:43], v[82:83], v[42:43]
	v_fma_f64 v[62:63], v[62:63], s[2:3], v[4:5]
	v_fma_f64 v[145:146], v[146:147], -0.5, v[150:151]
	v_fma_f64 v[100:101], v[100:101], -0.5, v[152:153]
	v_add_f64 v[0:1], v[84:85], v[28:29]
	v_mul_f64 v[106:107], v[143:144], s[0:1]
	v_mul_f64 v[112:113], v[143:144], 0.5
	v_mul_f64 v[72:73], v[74:75], s[0:1]
	v_mul_f64 v[74:75], v[74:75], -0.5
	v_mul_f64 v[126:127], v[80:81], s[0:1]
	v_mul_f64 v[80:81], v[80:81], 0.5
	v_mul_f64 v[82:83], v[78:79], s[0:1]
	v_mul_f64 v[78:79], v[78:79], -0.5
	v_fma_f64 v[128:129], v[6:7], s[0:1], v[52:53]
	v_fma_f64 v[52:53], v[6:7], s[2:3], v[52:53]
	v_add_f64 v[4:5], v[84:85], -v[28:29]
	v_fma_f64 v[84:85], v[32:33], s[0:1], v[18:19]
	v_fma_f64 v[147:148], v[104:105], s[2:3], v[20:21]
	;; [unrolled: 1-line block ×5, first 2 shown]
	v_add_f64 v[54:55], v[2:3], v[54:55]
	v_fma_f64 v[153:154], v[60:61], s[2:3], v[120:121]
	v_add_f64 v[2:3], v[12:13], v[22:23]
	v_add_f64 v[6:7], v[12:13], -v[22:23]
	v_fma_f64 v[66:67], v[58:59], 0.5, v[66:67]
	v_fma_f64 v[58:59], v[58:59], s[2:3], v[86:87]
	v_fma_f64 v[86:87], v[44:45], s[0:1], v[122:123]
	;; [unrolled: 1-line block ×3, first 2 shown]
	v_fma_f64 v[50:51], v[16:17], -0.5, v[50:51]
	v_fma_f64 v[102:103], v[16:17], s[2:3], v[102:103]
	v_add_f64 v[8:9], v[26:27], v[34:35]
	v_add_f64 v[10:11], v[30:31], v[36:37]
	v_add_f64 v[13:14], v[26:27], -v[34:35]
	v_add_f64 v[15:16], v[30:31], -v[36:37]
	v_add_f64 v[17:18], v[38:39], v[56:57]
	v_mul_f64 v[130:131], v[108:109], s[0:1]
	v_mul_f64 v[108:109], v[108:109], 0.5
	v_mul_f64 v[143:144], v[110:111], s[0:1]
	v_mul_f64 v[110:111], v[110:111], -0.5
	v_add_f64 v[27:28], v[116:117], v[42:43]
	v_fma_f64 v[160:161], v[156:157], s[2:3], v[100:101]
	v_add_f64 v[31:32], v[116:117], -v[42:43]
	v_fma_f64 v[106:107], v[76:77], 0.5, v[106:107]
	v_fma_f64 v[76:77], v[76:77], s[2:3], v[112:113]
	v_fma_f64 v[112:113], v[40:41], s[0:1], v[124:125]
	v_fma_f64 v[72:73], v[24:25], -0.5, v[72:73]
	v_fma_f64 v[74:75], v[24:25], s[2:3], v[74:75]
	v_fma_f64 v[124:125], v[64:65], s[0:1], v[118:119]
	v_fma_f64 v[126:127], v[114:115], 0.5, v[126:127]
	v_fma_f64 v[80:81], v[114:115], s[2:3], v[80:81]
	v_fma_f64 v[118:119], v[64:65], s[2:3], v[118:119]
	;; [unrolled: 1-line block ×3, first 2 shown]
	v_fma_f64 v[82:83], v[62:63], -0.5, v[82:83]
	v_fma_f64 v[158:159], v[62:63], s[2:3], v[78:79]
	v_fma_f64 v[120:121], v[68:69], s[0:1], v[145:146]
	;; [unrolled: 1-line block ×3, first 2 shown]
	v_add_f64 v[21:22], v[38:39], -v[56:57]
	v_add_f64 v[19:20], v[48:49], v[46:47]
	v_add_f64 v[23:24], v[48:49], -v[46:47]
	v_add_f64 v[25:26], v[70:71], v[54:55]
	;; [unrolled: 2-line block ×3, first 2 shown]
	v_add_f64 v[35:36], v[147:148], v[58:59]
	v_add_f64 v[37:38], v[84:85], -v[66:67]
	v_add_f64 v[39:40], v[147:148], -v[58:59]
	v_add_f64 v[41:42], v[149:150], v[50:51]
	v_add_f64 v[43:44], v[104:105], v[102:103]
	v_add_f64 v[45:46], v[149:150], -v[50:51]
	v_add_f64 v[47:48], v[104:105], -v[102:103]
	v_mul_u32_u24_e32 v85, 0xd80, v138
	v_fma_f64 v[130:131], v[128:129], 0.5, v[130:131]
	v_fma_f64 v[108:109], v[128:129], s[2:3], v[108:109]
	v_fma_f64 v[128:129], v[156:157], s[0:1], v[100:101]
	v_fma_f64 v[143:144], v[52:53], -0.5, v[143:144]
	v_fma_f64 v[110:111], v[52:53], s[2:3], v[110:111]
	v_cmp_gt_u32_e64 s0, 0x48, v88
	s_add_u32 s1, s4, 0xd7a0
	v_add_f64 v[49:50], v[86:87], v[106:107]
	v_add_f64 v[51:52], v[151:152], v[76:77]
	v_add_f64 v[53:54], v[86:87], -v[106:107]
	v_add_f64 v[57:58], v[122:123], v[72:73]
	v_add_f64 v[59:60], v[112:113], v[74:75]
	v_add_f64 v[55:56], v[151:152], -v[76:77]
	v_add_f64 v[61:62], v[122:123], -v[72:73]
	;; [unrolled: 1-line block ×3, first 2 shown]
	v_add_f64 v[65:66], v[124:125], v[126:127]
	v_add_f64 v[67:68], v[153:154], v[80:81]
	;; [unrolled: 1-line block ×4, first 2 shown]
	v_add_f64 v[69:70], v[124:125], -v[126:127]
	v_add_f64 v[71:72], v[153:154], -v[80:81]
	;; [unrolled: 1-line block ×4, first 2 shown]
	v_lshlrev_b32_e32 v86, 4, v139
	v_lshlrev_b32_e32 v87, 4, v140
	;; [unrolled: 1-line block ×4, first 2 shown]
	v_cndmask_b32_e64 v12, v162, v90, s0
	v_add3_u32 v85, 0, v85, v86
	v_add3_u32 v86, 0, v164, v87
	v_add3_u32 v87, 0, v165, v112
	v_add3_u32 v112, 0, v166, v113
	s_addc_u32 s2, s5, 0
	s_mov_b32 s3, exec_lo
	v_add_f64 v[81:82], v[120:121], v[130:131]
	v_add_f64 v[83:84], v[160:161], v[108:109]
	v_add_f64 v[100:101], v[120:121], -v[130:131]
	v_add_f64 v[104:105], v[145:146], v[143:144]
	v_add_f64 v[106:107], v[128:129], v[110:111]
	v_add_f64 v[102:103], v[160:161], -v[108:109]
	v_add_f64 v[108:109], v[145:146], -v[143:144]
	;; [unrolled: 1-line block ×3, first 2 shown]
	ds_store_b128 v85, v[0:3]
	ds_store_b128 v85, v[33:36] offset:576
	ds_store_b128 v85, v[4:7] offset:1728
	ds_store_b128 v85, v[41:44] offset:1152
	ds_store_b128 v85, v[37:40] offset:2304
	ds_store_b128 v85, v[45:48] offset:2880
	ds_store_b128 v86, v[8:11]
	ds_store_b128 v86, v[49:52] offset:576
	ds_store_b128 v86, v[57:60] offset:1152
	ds_store_b128 v86, v[13:16] offset:1728
	ds_store_b128 v86, v[53:56] offset:2304
	ds_store_b128 v86, v[61:64] offset:2880
	;; [unrolled: 6-line block ×4, first 2 shown]
	s_waitcnt lgkmcnt(0)
	s_barrier
	buffer_gl0_inv
	s_clause 0x1
	global_load_b128 v[0:3], v163, s[4:5] offset:3360
	global_load_b128 v[13:16], v163, s[4:5] offset:3376
	v_mov_b32_e32 v8, 0
	v_mul_i32_i24_e32 v7, 3, v12
	v_lshrrev_b16 v6, 3, v98
	global_load_b128 v[17:20], v163, s[4:5] offset:3392
	v_lshlrev_b32_e32 v12, 4, v12
	v_lshlrev_b64 v[4:5], 4, v[7:8]
	v_lshrrev_b16 v7, 3, v97
	s_delay_alu instid0(VALU_DEP_2) | instskip(NEXT) | instid1(VALU_DEP_1)
	v_add_co_u32 v9, s0, s4, v4
	v_add_co_ci_u32_e64 v10, s0, s5, v5, s0
	v_add_co_u32 v5, s0, s4, v163
	v_and_b32_e32 v4, 0xffff, v6
	global_load_b128 v[21:24], v[9:10], off offset:3360
	v_add_co_ci_u32_e64 v6, null, s5, 0, s0
	s_clause 0x1
	global_load_b128 v[25:28], v[9:10], off offset:3376
	global_load_b128 v[29:32], v[9:10], off offset:3392
	v_add_co_u32 v9, s0, 0x1000, v5
	s_delay_alu instid0(VALU_DEP_1)
	v_add_co_ci_u32_e64 v10, s0, 0, v6, s0
	v_mul_u32_u24_e32 v4, 0x12f7, v4
	v_and_b32_e32 v7, 0xffff, v7
	global_load_b128 v[33:36], v[9:10], off offset:2720
	v_add_co_u32 v9, s0, 0x1aa0, v5
	v_lshrrev_b32_e32 v4, 17, v4
	v_add_co_ci_u32_e64 v10, s0, 0, v6, s0
	v_mul_u32_u24_e32 v7, 0x12f7, v7
	v_cmp_lt_u32_e64 s0, 0x47, v88
	s_delay_alu instid0(VALU_DEP_4)
	v_mul_lo_u16 v4, 0xd8, v4
	s_clause 0x1
	global_load_b128 v[37:40], v[9:10], off offset:16
	global_load_b128 v[41:44], v[9:10], off offset:32
	v_lshrrev_b32_e32 v7, 17, v7
	v_sub_nc_u16 v4, v98, v4
	s_delay_alu instid0(VALU_DEP_2) | instskip(NEXT) | instid1(VALU_DEP_2)
	v_mul_u32_u24_e32 v87, 0x3600, v7
	v_and_b32_e32 v4, 0xffff, v4
	s_delay_alu instid0(VALU_DEP_1) | instskip(SKIP_1) | instid1(VALU_DEP_2)
	v_mul_u32_u24_e32 v11, 3, v4
	v_lshl_add_u32 v4, v4, 4, 0
	v_lshlrev_b32_e32 v11, 4, v11
	global_load_b128 v[53:56], v11, s[4:5] offset:3392
	v_lshrrev_b16 v9, 3, v96
	s_clause 0x1
	global_load_b128 v[45:48], v11, s[4:5] offset:3360
	global_load_b128 v[49:52], v11, s[4:5] offset:3376
	v_mul_lo_u16 v10, 0xd8, v7
	v_mul_i32_i24_e32 v7, 3, v90
	v_and_b32_e32 v9, 0xffff, v9
	s_delay_alu instid0(VALU_DEP_3) | instskip(NEXT) | instid1(VALU_DEP_2)
	v_sub_nc_u16 v10, v97, v10
	v_mul_u32_u24_e32 v9, 0x12f7, v9
	s_delay_alu instid0(VALU_DEP_2) | instskip(NEXT) | instid1(VALU_DEP_2)
	v_and_b32_e32 v10, 0xffff, v10
	v_lshrrev_b32_e32 v9, 17, v9
	s_delay_alu instid0(VALU_DEP_2) | instskip(SKIP_1) | instid1(VALU_DEP_3)
	v_mul_u32_u24_e32 v11, 3, v10
	v_lshlrev_b32_e32 v10, 4, v10
	v_mul_lo_u16 v9, 0xd8, v9
	s_delay_alu instid0(VALU_DEP_3)
	v_lshlrev_b32_e32 v11, 4, v11
	s_clause 0x1
	global_load_b128 v[57:60], v11, s[4:5] offset:3360
	global_load_b128 v[61:64], v11, s[4:5] offset:3376
	v_sub_nc_u16 v9, v96, v9
	v_add3_u32 v10, 0, v87, v10
	s_delay_alu instid0(VALU_DEP_2) | instskip(NEXT) | instid1(VALU_DEP_1)
	v_and_b32_e32 v9, 0xffff, v9
	v_mul_u32_u24_e32 v65, 3, v9
	v_lshl_add_u32 v9, v9, 4, 0
	s_delay_alu instid0(VALU_DEP_2)
	v_lshlrev_b32_e32 v77, 4, v65
	s_clause 0x3
	global_load_b128 v[65:68], v11, s[4:5] offset:3392
	global_load_b128 v[69:72], v77, s[4:5] offset:3360
	;; [unrolled: 1-line block ×4, first 2 shown]
	ds_load_b128 v[81:84], v132 offset:13824
	ds_load_b128 v[100:103], v132 offset:27648
	;; [unrolled: 1-line block ×10, first 2 shown]
	v_lshl_add_u32 v11, v96, 4, 0
	s_waitcnt vmcnt(17) lgkmcnt(9)
	v_mul_f64 v[85:86], v[83:84], v[2:3]
	v_mul_f64 v[2:3], v[81:82], v[2:3]
	s_waitcnt vmcnt(16) lgkmcnt(8)
	v_mul_f64 v[142:143], v[102:103], v[15:16]
	v_mul_f64 v[15:16], v[100:101], v[15:16]
	;; [unrolled: 3-line block ×4, first 2 shown]
	s_waitcnt vmcnt(13) lgkmcnt(5)
	v_mul_f64 v[148:149], v[114:115], v[27:28]
	s_waitcnt vmcnt(12) lgkmcnt(3)
	v_mul_f64 v[150:151], v[122:123], v[31:32]
	v_mul_f64 v[31:32], v[120:121], v[31:32]
	;; [unrolled: 1-line block ×3, first 2 shown]
	v_fma_f64 v[85:86], v[81:82], v[0:1], v[85:86]
	s_waitcnt vmcnt(11) lgkmcnt(2)
	v_mul_f64 v[81:82], v[126:127], v[35:36]
	v_mul_f64 v[35:36], v[124:125], v[35:36]
	v_fma_f64 v[152:153], v[83:84], v[0:1], -v[2:3]
	ds_load_b128 v[0:3], v132 offset:20736
	v_fma_f64 v[104:105], v[104:105], v[17:18], v[144:145]
	v_fma_f64 v[106:107], v[106:107], v[17:18], -v[19:20]
	ds_load_b128 v[17:20], v132 offset:34560
	v_fma_f64 v[100:101], v[100:101], v[13:14], v[142:143]
	v_fma_f64 v[102:103], v[102:103], v[13:14], -v[15:16]
	ds_load_b128 v[13:16], v135
	v_fma_f64 v[108:109], v[108:109], v[21:22], v[146:147]
	v_fma_f64 v[110:111], v[110:111], v[21:22], -v[23:24]
	ds_load_b128 v[21:24], v132 offset:48384
	s_waitcnt vmcnt(9) lgkmcnt(4)
	v_mul_f64 v[142:143], v[140:141], v[43:44]
	v_fma_f64 v[120:121], v[120:121], v[29:30], v[150:151]
	v_fma_f64 v[122:123], v[122:123], v[29:30], -v[31:32]
	ds_load_b128 v[29:32], v132 offset:50688
	v_fma_f64 v[112:113], v[112:113], v[25:26], v[148:149]
	s_waitcnt vmcnt(7) lgkmcnt(4)
	v_mul_f64 v[144:145], v[2:3], v[47:48]
	v_mul_f64 v[47:48], v[0:1], v[47:48]
	v_fma_f64 v[114:115], v[114:115], v[25:26], -v[27:28]
	ds_load_b128 v[25:28], v132 offset:36864
	s_waitcnt vmcnt(6) lgkmcnt(4)
	v_mul_f64 v[146:147], v[19:20], v[51:52]
	v_mul_f64 v[51:52], v[17:18], v[51:52]
	v_mul_f64 v[43:44], v[138:139], v[43:44]
	v_fma_f64 v[124:125], v[124:125], v[33:34], v[81:82]
	v_fma_f64 v[126:127], v[126:127], v[33:34], -v[35:36]
	ds_load_b128 v[33:36], v132 offset:23040
	v_mul_f64 v[83:84], v[130:131], v[39:40]
	v_mul_f64 v[39:40], v[128:129], v[39:40]
	s_waitcnt lgkmcnt(3)
	v_mul_f64 v[148:149], v[23:24], v[55:56]
	v_mul_f64 v[55:56], v[21:22], v[55:56]
	s_waitcnt vmcnt(4) lgkmcnt(1)
	v_mul_f64 v[150:151], v[27:28], v[63:64]
	v_fma_f64 v[138:139], v[138:139], v[41:42], v[142:143]
	s_waitcnt lgkmcnt(0)
	v_mul_f64 v[142:143], v[35:36], v[59:60]
	v_mul_f64 v[59:60], v[33:34], v[59:60]
	v_fma_f64 v[144:145], v[0:1], v[45:46], v[144:145]
	v_fma_f64 v[45:46], v[2:3], v[45:46], -v[47:48]
	v_mul_f64 v[47:48], v[25:26], v[63:64]
	v_fma_f64 v[146:147], v[17:18], v[49:50], v[146:147]
	v_fma_f64 v[49:50], v[19:20], v[49:50], -v[51:52]
	s_waitcnt vmcnt(3)
	v_mul_f64 v[63:64], v[31:32], v[67:68]
	v_mul_f64 v[67:68], v[29:30], v[67:68]
	s_waitcnt vmcnt(1)
	v_mul_f64 v[19:20], v[118:119], v[75:76]
	v_mul_f64 v[51:52], v[116:117], v[75:76]
	v_fma_f64 v[140:141], v[140:141], v[41:42], -v[43:44]
	v_fma_f64 v[128:129], v[128:129], v[37:38], v[83:84]
	v_fma_f64 v[130:131], v[130:131], v[37:38], -v[39:40]
	ds_load_b128 v[37:40], v132 offset:25344
	ds_load_b128 v[81:84], v132 offset:52992
	v_fma_f64 v[75:76], v[21:22], v[53:54], v[148:149]
	v_fma_f64 v[53:54], v[23:24], v[53:54], -v[55:56]
	ds_load_b128 v[41:44], v132
	ds_load_b128 v[0:3], v91
	v_fma_f64 v[55:56], v[25:26], v[61:62], v[150:151]
	s_waitcnt lgkmcnt(3)
	v_mul_f64 v[154:155], v[39:40], v[71:72]
	v_mul_f64 v[17:18], v[37:38], v[71:72]
	s_waitcnt vmcnt(0) lgkmcnt(2)
	v_mul_f64 v[71:72], v[83:84], v[79:80]
	v_mul_f64 v[21:22], v[81:82], v[79:80]
	v_fma_f64 v[33:34], v[33:34], v[57:58], v[142:143]
	v_fma_f64 v[35:36], v[35:36], v[57:58], -v[59:60]
	v_fma_f64 v[47:48], v[27:28], v[61:62], -v[47:48]
	v_add_f64 v[79:80], v[110:111], -v[122:123]
	v_fma_f64 v[29:30], v[29:30], v[65:66], v[63:64]
	v_fma_f64 v[31:32], v[31:32], v[65:66], -v[67:68]
	v_fma_f64 v[57:58], v[116:117], v[73:74], v[19:20]
	v_fma_f64 v[51:52], v[118:119], v[73:74], -v[51:52]
	s_waitcnt lgkmcnt(1)
	v_add_f64 v[63:64], v[41:42], -v[100:101]
	v_add_f64 v[65:66], v[43:44], -v[102:103]
	;; [unrolled: 1-line block ×3, first 2 shown]
	s_waitcnt lgkmcnt(0)
	v_add_f64 v[73:74], v[2:3], -v[114:115]
	v_add_f64 v[100:101], v[124:125], -v[138:139]
	;; [unrolled: 1-line block ×4, first 2 shown]
	v_fma_f64 v[37:38], v[37:38], v[69:70], v[154:155]
	v_fma_f64 v[39:40], v[39:40], v[69:70], -v[17:18]
	v_fma_f64 v[59:60], v[81:82], v[77:78], v[71:72]
	v_fma_f64 v[61:62], v[83:84], v[77:78], -v[21:22]
	ds_load_b128 v[17:20], v137
	ds_load_b128 v[21:24], v136
	;; [unrolled: 1-line block ×3, first 2 shown]
	v_add_f64 v[69:70], v[152:153], -v[106:107]
	v_add_f64 v[71:72], v[0:1], -v[112:113]
	;; [unrolled: 1-line block ×7, first 2 shown]
	s_waitcnt lgkmcnt(0)
	s_barrier
	v_fma_f64 v[120:121], v[43:44], 2.0, -v[65:66]
	v_fma_f64 v[29:30], v[85:86], 2.0, -v[67:68]
	;; [unrolled: 1-line block ×4, first 2 shown]
	buffer_gl0_inv
	v_fma_f64 v[45:46], v[45:46], 2.0, -v[53:54]
	v_add_f64 v[81:82], v[17:18], -v[128:129]
	v_add_f64 v[83:84], v[19:20], -v[130:131]
	;; [unrolled: 1-line block ×7, first 2 shown]
	v_fma_f64 v[75:76], v[41:42], 2.0, -v[63:64]
	v_add_f64 v[51:52], v[37:38], -v[59:60]
	v_add_f64 v[57:58], v[39:40], -v[61:62]
	v_fma_f64 v[59:60], v[124:125], 2.0, -v[100:101]
	v_fma_f64 v[61:62], v[126:127], 2.0, -v[102:103]
	;; [unrolled: 1-line block ×9, first 2 shown]
	v_add_f64 v[13:14], v[63:64], v[69:70]
	v_add_f64 v[15:16], v[65:66], -v[67:68]
	v_add_f64 v[0:1], v[71:72], v[79:80]
	v_add_f64 v[2:3], v[73:74], -v[77:78]
	v_fma_f64 v[108:109], v[17:18], 2.0, -v[81:82]
	v_fma_f64 v[110:111], v[19:20], 2.0, -v[83:84]
	;; [unrolled: 1-line block ×7, first 2 shown]
	v_add_f64 v[17:18], v[75:76], -v[29:30]
	v_add_f64 v[23:24], v[122:123], -v[43:44]
	v_add_f64 v[25:26], v[81:82], v[102:103]
	v_add_f64 v[27:28], v[83:84], -v[100:101]
	v_add_f64 v[33:34], v[104:105], v[53:54]
	v_add_f64 v[35:36], v[106:107], -v[49:50]
	v_add_f64 v[43:44], v[114:115], -v[47:48]
	v_fma_f64 v[148:149], v[37:38], 2.0, -v[51:52]
	v_fma_f64 v[150:151], v[39:40], 2.0, -v[57:58]
	v_add_f64 v[49:50], v[116:117], v[57:58]
	v_add_f64 v[51:52], v[118:119], -v[51:52]
	v_add_f64 v[19:20], v[120:121], -v[31:32]
	v_cndmask_b32_e64 v57, 0, 0x3600, s0
	v_add_f64 v[21:22], v[85:86], -v[41:42]
	v_add_f64 v[41:42], v[112:113], v[55:56]
	v_add_f64 v[47:48], v[138:139], -v[142:143]
	s_delay_alu instid0(VALU_DEP_4)
	v_add3_u32 v12, 0, v57, v12
	v_fma_f64 v[57:58], v[63:64], 2.0, -v[13:14]
	v_fma_f64 v[63:64], v[73:74], 2.0, -v[2:3]
	v_add_f64 v[29:30], v[108:109], -v[59:60]
	v_add_f64 v[31:32], v[110:111], -v[61:62]
	v_fma_f64 v[59:60], v[65:66], 2.0, -v[15:16]
	v_add_f64 v[39:40], v[126:127], -v[45:46]
	v_add_f64 v[37:38], v[124:125], -v[128:129]
	;; [unrolled: 1-line block ×3, first 2 shown]
	v_fma_f64 v[61:62], v[71:72], 2.0, -v[0:1]
	v_fma_f64 v[65:66], v[75:76], 2.0, -v[17:18]
	;; [unrolled: 1-line block ×8, first 2 shown]
	v_add_f64 v[53:54], v[144:145], -v[148:149]
	v_add_f64 v[55:56], v[146:147], -v[150:151]
	v_fma_f64 v[114:115], v[118:119], 2.0, -v[51:52]
	v_fma_f64 v[67:68], v[120:121], 2.0, -v[19:20]
	;; [unrolled: 1-line block ×5, first 2 shown]
	v_add_co_u32 v85, s0, 0x3000, v5
	s_delay_alu instid0(VALU_DEP_1) | instskip(SKIP_1) | instid1(VALU_DEP_1)
	v_add_co_ci_u32_e64 v86, s0, 0, v6, s0
	v_add_co_u32 v5, s0, 0x35a0, v5
	v_add_co_ci_u32_e64 v6, s0, 0, v6, s0
	v_fma_f64 v[77:78], v[108:109], 2.0, -v[29:30]
	v_fma_f64 v[79:80], v[110:111], 2.0, -v[31:32]
	;; [unrolled: 1-line block ×8, first 2 shown]
	ds_store_b128 v132, v[13:16] offset:10368
	ds_store_b128 v132, v[17:20] offset:6912
	;; [unrolled: 1-line block ×3, first 2 shown]
	ds_store_b128 v132, v[65:68]
	ds_store_b128 v12, v[69:72]
	ds_store_b128 v12, v[61:64] offset:3456
	ds_store_b128 v12, v[21:24] offset:6912
	;; [unrolled: 1-line block ×11, first 2 shown]
	ds_store_b128 v10, v[108:111]
	ds_store_b128 v10, v[104:107] offset:3456
	ds_store_b128 v10, v[45:48] offset:6912
	;; [unrolled: 1-line block ×7, first 2 shown]
	s_waitcnt lgkmcnt(0)
	s_barrier
	buffer_gl0_inv
	global_load_b128 v[0:3], v[85:86], off offset:1440
	v_lshlrev_b64 v[9:10], 4, v[7:8]
	v_mul_i32_i24_e32 v7, 3, v99
	s_clause 0x1
	global_load_b128 v[12:15], v[5:6], off offset:16
	global_load_b128 v[16:19], v[5:6], off offset:32
	v_lshlrev_b64 v[28:29], 4, v[7:8]
	v_add_co_u32 v7, s0, s4, v9
	s_delay_alu instid0(VALU_DEP_1) | instskip(NEXT) | instid1(VALU_DEP_2)
	v_add_co_ci_u32_e64 v10, s0, s5, v10, s0
	v_add_co_u32 v4, s0, 0x3000, v7
	s_delay_alu instid0(VALU_DEP_1) | instskip(SKIP_1) | instid1(VALU_DEP_1)
	v_add_co_ci_u32_e64 v5, s0, 0, v10, s0
	v_add_co_u32 v9, s0, 0x35a0, v7
	v_add_co_ci_u32_e64 v10, s0, 0, v10, s0
	global_load_b128 v[20:23], v[4:5], off offset:1440
	v_add_co_u32 v32, s0, s4, v28
	global_load_b128 v[24:27], v[9:10], off offset:16
	v_mul_i32_i24_e32 v7, 3, v98
	v_add_co_ci_u32_e64 v33, s0, s5, v29, s0
	v_add_co_u32 v6, s0, 0x3000, v32
	s_delay_alu instid0(VALU_DEP_3) | instskip(NEXT) | instid1(VALU_DEP_3)
	v_lshlrev_b64 v[4:5], 4, v[7:8]
	v_add_co_ci_u32_e64 v7, s0, 0, v33, s0
	global_load_b128 v[28:31], v[9:10], off offset:32
	v_add_co_u32 v9, s0, 0x35a0, v32
	s_delay_alu instid0(VALU_DEP_1) | instskip(SKIP_4) | instid1(VALU_DEP_1)
	v_add_co_ci_u32_e64 v10, s0, 0, v33, s0
	s_clause 0x1
	global_load_b128 v[32:35], v[6:7], off offset:1440
	global_load_b128 v[36:39], v[9:10], off offset:16
	v_add_co_u32 v6, s0, s4, v4
	v_add_co_ci_u32_e64 v44, s0, s5, v5, s0
	global_load_b128 v[40:43], v[9:10], off offset:32
	v_add_co_u32 v4, s0, 0x3000, v6
	s_delay_alu instid0(VALU_DEP_1) | instskip(SKIP_1) | instid1(VALU_DEP_1)
	v_add_co_ci_u32_e64 v5, s0, 0, v44, s0
	v_add_co_u32 v9, s0, 0x35a0, v6
	v_add_co_ci_u32_e64 v10, s0, 0, v44, s0
	global_load_b128 v[44:47], v[4:5], off offset:1440
	v_mul_i32_i24_e32 v7, 3, v97
	global_load_b128 v[48:51], v[9:10], off offset:16
	v_lshlrev_b64 v[4:5], 4, v[7:8]
	v_mul_i32_i24_e32 v7, 3, v96
	s_delay_alu instid0(VALU_DEP_2) | instskip(NEXT) | instid1(VALU_DEP_1)
	v_add_co_u32 v6, s0, s4, v4
	v_add_co_ci_u32_e64 v54, s0, s5, v5, s0
	s_delay_alu instid0(VALU_DEP_3) | instskip(NEXT) | instid1(VALU_DEP_3)
	v_lshlrev_b64 v[4:5], 4, v[7:8]
	v_add_co_u32 v52, s0, 0x3000, v6
	s_delay_alu instid0(VALU_DEP_1) | instskip(SKIP_1) | instid1(VALU_DEP_1)
	v_add_co_ci_u32_e64 v53, s0, 0, v54, s0
	v_add_co_u32 v60, s0, 0x35a0, v6
	v_add_co_ci_u32_e64 v61, s0, 0, v54, s0
	v_add_co_u32 v64, s0, s4, v4
	s_delay_alu instid0(VALU_DEP_1) | instskip(SKIP_4) | instid1(VALU_DEP_1)
	v_add_co_ci_u32_e64 v65, s0, s5, v5, s0
	s_clause 0x1
	global_load_b128 v[4:7], v[9:10], off offset:32
	global_load_b128 v[52:55], v[52:53], off offset:1440
	v_add_co_u32 v9, s0, 0x3000, v64
	v_add_co_ci_u32_e64 v10, s0, 0, v65, s0
	v_add_co_u32 v72, s0, 0x35a0, v64
	s_clause 0x1
	global_load_b128 v[56:59], v[60:61], off offset:16
	global_load_b128 v[60:63], v[60:61], off offset:32
	v_add_co_ci_u32_e64 v73, s0, 0, v65, s0
	s_clause 0x2
	global_load_b128 v[64:67], v[9:10], off offset:1440
	global_load_b128 v[68:71], v[72:73], off offset:16
	;; [unrolled: 1-line block ×3, first 2 shown]
	ds_load_b128 v[76:79], v132 offset:13824
	ds_load_b128 v[80:83], v132 offset:27648
	;; [unrolled: 1-line block ×11, first 2 shown]
	s_waitcnt vmcnt(17) lgkmcnt(10)
	v_mul_f64 v[9:10], v[78:79], v[2:3]
	v_mul_f64 v[2:3], v[76:77], v[2:3]
	s_waitcnt vmcnt(16) lgkmcnt(9)
	v_mul_f64 v[138:139], v[82:83], v[14:15]
	v_mul_f64 v[14:15], v[80:81], v[14:15]
	;; [unrolled: 3-line block ×6, first 2 shown]
	v_fma_f64 v[9:10], v[76:77], v[0:1], v[9:10]
	v_fma_f64 v[148:149], v[78:79], v[0:1], -v[2:3]
	ds_load_b128 v[0:3], v132 offset:34560
	s_waitcnt vmcnt(11) lgkmcnt(4)
	v_mul_f64 v[150:151], v[118:119], v[34:35]
	v_mul_f64 v[34:35], v[116:117], v[34:35]
	v_fma_f64 v[138:139], v[80:81], v[12:13], v[138:139]
	v_fma_f64 v[152:153], v[82:83], v[12:13], -v[14:15]
	ds_load_b128 v[12:15], v135
	s_waitcnt vmcnt(10) lgkmcnt(4)
	v_mul_f64 v[154:155], v[122:123], v[38:39]
	v_mul_f64 v[38:39], v[120:121], v[38:39]
	v_fma_f64 v[84:85], v[84:85], v[16:17], v[140:141]
	s_waitcnt vmcnt(9) lgkmcnt(3)
	v_mul_f64 v[140:141], v[126:127], v[42:43]
	v_mul_f64 v[42:43], v[124:125], v[42:43]
	v_fma_f64 v[86:87], v[86:87], v[16:17], -v[18:19]
	ds_load_b128 v[16:19], v132 offset:36864
	s_waitcnt vmcnt(8) lgkmcnt(3)
	v_mul_f64 v[156:157], v[130:131], v[46:47]
	v_mul_f64 v[46:47], v[128:129], v[46:47]
	v_fma_f64 v[100:101], v[100:101], v[20:21], v[142:143]
	s_waitcnt vmcnt(7) lgkmcnt(2)
	v_mul_f64 v[142:143], v[2:3], v[50:51]
	v_mul_f64 v[50:51], v[0:1], v[50:51]
	v_fma_f64 v[102:103], v[102:103], v[20:21], -v[22:23]
	v_fma_f64 v[104:105], v[104:105], v[24:25], v[144:145]
	v_fma_f64 v[106:107], v[106:107], v[24:25], -v[26:27]
	ds_load_b128 v[20:23], v132 offset:48384
	ds_load_b128 v[24:27], v132 offset:23040
	v_fma_f64 v[112:113], v[112:113], v[28:29], v[146:147]
	v_fma_f64 v[114:115], v[114:115], v[28:29], -v[30:31]
	ds_load_b128 v[28:31], v132 offset:50688
	ds_load_b128 v[76:79], v132 offset:25344
	v_fma_f64 v[116:117], v[116:117], v[32:33], v[150:151]
	v_fma_f64 v[118:119], v[118:119], v[32:33], -v[34:35]
	ds_load_b128 v[32:35], v132 offset:52992
	ds_load_b128 v[80:83], v132
	v_fma_f64 v[120:121], v[120:121], v[36:37], v[154:155]
	v_fma_f64 v[36:37], v[122:123], v[36:37], -v[38:39]
	s_waitcnt vmcnt(6) lgkmcnt(5)
	v_mul_f64 v[38:39], v[22:23], v[6:7]
	v_mul_f64 v[6:7], v[20:21], v[6:7]
	s_waitcnt vmcnt(5) lgkmcnt(4)
	v_mul_f64 v[122:123], v[26:27], v[54:55]
	v_mul_f64 v[54:55], v[24:25], v[54:55]
	v_fma_f64 v[124:125], v[124:125], v[40:41], v[140:141]
	v_fma_f64 v[40:41], v[126:127], v[40:41], -v[42:43]
	s_waitcnt vmcnt(4)
	v_mul_f64 v[42:43], v[18:19], v[58:59]
	v_mul_f64 v[58:59], v[16:17], v[58:59]
	s_waitcnt vmcnt(3) lgkmcnt(3)
	v_mul_f64 v[126:127], v[30:31], v[62:63]
	v_mul_f64 v[62:63], v[28:29], v[62:63]
	v_fma_f64 v[128:129], v[128:129], v[44:45], v[156:157]
	v_fma_f64 v[44:45], v[130:131], v[44:45], -v[46:47]
	s_waitcnt vmcnt(2) lgkmcnt(2)
	v_mul_f64 v[46:47], v[78:79], v[66:67]
	v_mul_f64 v[66:67], v[76:77], v[66:67]
	s_waitcnt vmcnt(1)
	v_mul_f64 v[130:131], v[110:111], v[70:71]
	v_mul_f64 v[70:71], v[108:109], v[70:71]
	v_fma_f64 v[140:141], v[0:1], v[48:49], v[142:143]
	v_fma_f64 v[48:49], v[2:3], v[48:49], -v[50:51]
	s_waitcnt vmcnt(0) lgkmcnt(1)
	v_mul_f64 v[50:51], v[34:35], v[74:75]
	v_mul_f64 v[74:75], v[32:33], v[74:75]
	ds_load_b128 v[0:3], v91
	v_fma_f64 v[38:39], v[20:21], v[4:5], v[38:39]
	v_fma_f64 v[142:143], v[22:23], v[4:5], -v[6:7]
	v_fma_f64 v[24:25], v[24:25], v[52:53], v[122:123]
	v_fma_f64 v[26:27], v[26:27], v[52:53], -v[54:55]
	v_add_f64 v[40:41], v[118:119], -v[40:41]
	v_fma_f64 v[42:43], v[16:17], v[56:57], v[42:43]
	v_fma_f64 v[52:53], v[18:19], v[56:57], -v[58:59]
	v_fma_f64 v[28:29], v[28:29], v[60:61], v[126:127]
	v_fma_f64 v[30:31], v[30:31], v[60:61], -v[62:63]
	ds_load_b128 v[4:7], v137
	ds_load_b128 v[16:19], v136
	;; [unrolled: 1-line block ×3, first 2 shown]
	s_waitcnt lgkmcnt(4)
	v_add_f64 v[60:61], v[80:81], -v[138:139]
	v_fma_f64 v[46:47], v[76:77], v[64:65], v[46:47]
	v_fma_f64 v[54:55], v[78:79], v[64:65], -v[66:67]
	v_fma_f64 v[56:57], v[108:109], v[68:69], v[130:131]
	v_fma_f64 v[58:59], v[110:111], v[68:69], -v[70:71]
	v_add_f64 v[62:63], v[82:83], -v[152:153]
	v_add_f64 v[64:65], v[148:149], -v[86:87]
	v_fma_f64 v[32:33], v[32:33], v[72:73], v[50:51]
	v_fma_f64 v[34:35], v[34:35], v[72:73], -v[74:75]
	v_add_f64 v[50:51], v[9:10], -v[84:85]
	s_waitcnt lgkmcnt(3)
	v_add_f64 v[66:67], v[0:1], -v[104:105]
	v_add_f64 v[68:69], v[2:3], -v[106:107]
	;; [unrolled: 1-line block ×4, first 2 shown]
	s_waitcnt lgkmcnt(0)
	s_barrier
	buffer_gl0_inv
	v_add_f64 v[74:75], v[4:5], -v[120:121]
	v_add_f64 v[76:77], v[6:7], -v[36:37]
	v_add_f64 v[36:37], v[116:117], -v[124:125]
	v_add_f64 v[78:79], v[16:17], -v[140:141]
	v_add_f64 v[84:85], v[18:19], -v[48:49]
	v_add_f64 v[38:39], v[128:129], -v[38:39]
	v_add_f64 v[48:49], v[44:45], -v[142:143]
	v_fma_f64 v[114:115], v[118:119], 2.0, -v[40:41]
	v_add_f64 v[86:87], v[12:13], -v[42:43]
	v_add_f64 v[104:105], v[14:15], -v[52:53]
	;; [unrolled: 1-line block ×4, first 2 shown]
	v_fma_f64 v[80:81], v[80:81], 2.0, -v[60:61]
	v_add_f64 v[106:107], v[20:21], -v[56:57]
	v_add_f64 v[108:109], v[22:23], -v[58:59]
	v_fma_f64 v[82:83], v[82:83], 2.0, -v[62:63]
	v_fma_f64 v[28:29], v[148:149], 2.0, -v[64:65]
	v_add_f64 v[56:57], v[46:47], -v[32:33]
	v_add_f64 v[58:59], v[54:55], -v[34:35]
	v_fma_f64 v[9:10], v[9:10], 2.0, -v[50:51]
	v_fma_f64 v[110:111], v[0:1], 2.0, -v[66:67]
	;; [unrolled: 1-line block ×5, first 2 shown]
	v_add_f64 v[0:1], v[60:61], v[64:65]
	v_add_f64 v[2:3], v[62:63], -v[50:51]
	v_fma_f64 v[100:101], v[4:5], 2.0, -v[74:75]
	v_fma_f64 v[102:103], v[6:7], 2.0, -v[76:77]
	;; [unrolled: 1-line block ×5, first 2 shown]
	v_add_f64 v[4:5], v[66:67], v[72:73]
	v_add_f64 v[6:7], v[68:69], -v[70:71]
	v_fma_f64 v[120:121], v[128:129], 2.0, -v[38:39]
	v_fma_f64 v[44:45], v[44:45], 2.0, -v[48:49]
	;; [unrolled: 1-line block ×8, first 2 shown]
	v_add_f64 v[20:21], v[74:75], v[40:41]
	v_add_f64 v[14:15], v[82:83], -v[28:29]
	v_fma_f64 v[140:141], v[46:47], 2.0, -v[56:57]
	v_fma_f64 v[54:55], v[54:55], 2.0, -v[58:59]
	v_add_f64 v[12:13], v[80:81], -v[9:10]
	v_add_f64 v[22:23], v[76:77], -v[36:37]
	v_add_f64 v[28:29], v[78:79], v[48:49]
	v_add_f64 v[16:17], v[110:111], -v[30:31]
	v_add_f64 v[18:19], v[112:113], -v[32:33]
	;; [unrolled: 1-line block ×3, first 2 shown]
	v_add_f64 v[36:37], v[86:87], v[52:53]
	v_add_f64 v[38:39], v[104:105], -v[42:43]
	v_add_f64 v[46:47], v[108:109], -v[56:57]
	;; [unrolled: 1-line block ×4, first 2 shown]
	v_fma_f64 v[52:53], v[60:61], 2.0, -v[0:1]
                                        ; implicit-def: $vgpr9_vgpr10
	v_fma_f64 v[56:57], v[66:67], 2.0, -v[4:5]
	v_add_f64 v[32:33], v[116:117], -v[120:121]
	v_add_f64 v[34:35], v[118:119], -v[44:45]
	v_add_f64 v[44:45], v[106:107], v[58:59]
	v_fma_f64 v[58:59], v[68:69], 2.0, -v[6:7]
	v_add_f64 v[40:41], v[122:123], -v[126:127]
	v_add_f64 v[42:43], v[124:125], -v[128:129]
	v_fma_f64 v[68:69], v[74:75], 2.0, -v[20:21]
	v_add_f64 v[48:49], v[130:131], -v[140:141]
	v_add_f64 v[50:51], v[138:139], -v[54:55]
	v_fma_f64 v[54:55], v[62:63], 2.0, -v[2:3]
	v_fma_f64 v[60:61], v[80:81], 2.0, -v[12:13]
	;; [unrolled: 1-line block ×20, first 2 shown]
	ds_store_b128 v132, v[52:55] offset:13824
	ds_store_b128 v132, v[12:15] offset:27648
	;; [unrolled: 1-line block ×3, first 2 shown]
	ds_store_b128 v132, v[60:63]
	ds_store_b128 v91, v[56:59] offset:13824
	ds_store_b128 v91, v[16:19] offset:27648
	ds_store_b128 v91, v[64:67]
	ds_store_b128 v91, v[4:7] offset:41472
	ds_store_b128 v137, v[68:71] offset:13824
	ds_store_b128 v137, v[24:27] offset:27648
	ds_store_b128 v137, v[72:75]
	ds_store_b128 v137, v[20:23] offset:41472
	ds_store_b128 v136, v[76:79] offset:13824
	ds_store_b128 v136, v[32:35] offset:27648
	ds_store_b128 v136, v[80:83]
	ds_store_b128 v136, v[28:31] offset:41472
	ds_store_b128 v135, v[84:87] offset:13824
	ds_store_b128 v135, v[40:43] offset:27648
	ds_store_b128 v135, v[100:103]
	ds_store_b128 v135, v[36:39] offset:41472
	ds_store_b128 v11, v[104:107] offset:13824
	ds_store_b128 v11, v[48:51] offset:27648
	ds_store_b128 v11, v[108:111]
	ds_store_b128 v11, v[44:47] offset:41472
	s_waitcnt lgkmcnt(0)
	s_barrier
	buffer_gl0_inv
	ds_load_b128 v[4:7], v132
	v_sub_nc_u32_e32 v12, 0, v89
                                        ; implicit-def: $vgpr2_vgpr3
	v_cmpx_ne_u32_e32 0, v88
	s_xor_b32 s3, exec_lo, s3
	s_cbranch_execz .LBB0_15
; %bb.14:
	v_mov_b32_e32 v89, v8
	s_delay_alu instid0(VALU_DEP_1) | instskip(NEXT) | instid1(VALU_DEP_1)
	v_lshlrev_b64 v[0:1], 4, v[88:89]
	v_add_co_u32 v0, s0, s1, v0
	s_delay_alu instid0(VALU_DEP_1)
	v_add_co_ci_u32_e64 v1, s0, s2, v1, s0
	global_load_b128 v[13:16], v[0:1], off
	ds_load_b128 v[0:3], v12 offset:55296
	s_waitcnt lgkmcnt(0)
	v_add_f64 v[8:9], v[4:5], -v[0:1]
	v_add_f64 v[17:18], v[6:7], v[2:3]
	v_add_f64 v[2:3], v[6:7], -v[2:3]
	v_add_f64 v[0:1], v[4:5], v[0:1]
	s_delay_alu instid0(VALU_DEP_4) | instskip(NEXT) | instid1(VALU_DEP_4)
	v_mul_f64 v[6:7], v[8:9], 0.5
	v_mul_f64 v[4:5], v[17:18], 0.5
	s_delay_alu instid0(VALU_DEP_4) | instskip(SKIP_1) | instid1(VALU_DEP_3)
	v_mul_f64 v[2:3], v[2:3], 0.5
	s_waitcnt vmcnt(0)
	v_mul_f64 v[8:9], v[6:7], v[15:16]
	s_delay_alu instid0(VALU_DEP_2) | instskip(SKIP_1) | instid1(VALU_DEP_3)
	v_fma_f64 v[17:18], v[4:5], v[15:16], v[2:3]
	v_fma_f64 v[2:3], v[4:5], v[15:16], -v[2:3]
	v_fma_f64 v[19:20], v[0:1], 0.5, v[8:9]
	v_fma_f64 v[0:1], v[0:1], 0.5, -v[8:9]
	s_delay_alu instid0(VALU_DEP_4) | instskip(NEXT) | instid1(VALU_DEP_4)
	v_fma_f64 v[9:10], -v[13:14], v[6:7], v[17:18]
	v_fma_f64 v[2:3], -v[13:14], v[6:7], v[2:3]
	s_delay_alu instid0(VALU_DEP_4) | instskip(NEXT) | instid1(VALU_DEP_4)
	v_fma_f64 v[15:16], v[4:5], v[13:14], v[19:20]
	v_fma_f64 v[0:1], -v[4:5], v[13:14], v[0:1]
                                        ; implicit-def: $vgpr4_vgpr5
	ds_store_b64 v132, v[15:16]
.LBB0_15:
	s_or_saveexec_b32 s0, s3
	v_mul_i32_i24_e32 v14, 0xffffffb0, v90
	v_mul_i32_i24_e32 v13, 0xffffffb0, v99
	;; [unrolled: 1-line block ×3, first 2 shown]
	s_xor_b32 exec_lo, exec_lo, s0
	s_cbranch_execz .LBB0_17
; %bb.16:
	s_waitcnt lgkmcnt(0)
	v_add_f64 v[15:16], v[4:5], v[6:7]
	v_add_f64 v[0:1], v[4:5], -v[6:7]
	v_dual_mov_b32 v6, 0 :: v_dual_mov_b32 v9, 0
	v_mov_b32_e32 v10, 0
	s_delay_alu instid0(VALU_DEP_2)
	v_mov_b32_e32 v2, v9
	ds_load_b64 v[4:5], v6 offset:27656
	v_mov_b32_e32 v3, v10
	s_waitcnt lgkmcnt(0)
	v_xor_b32_e32 v5, 0x80000000, v5
	ds_store_b64 v132, v[15:16]
	ds_store_b64 v6, v[4:5] offset:27656
.LBB0_17:
	s_or_b32 exec_lo, exec_lo, s0
	v_dual_mov_b32 v91, 0 :: v_dual_add_nc_u32 v14, v134, v14
	s_waitcnt lgkmcnt(0)
	s_delay_alu instid0(VALU_DEP_1) | instskip(SKIP_2) | instid1(VALU_DEP_3)
	v_lshlrev_b64 v[4:5], 4, v[90:91]
	v_mov_b32_e32 v100, v91
	v_add_nc_u32_e32 v90, 0x360, v88
	v_add_co_u32 v4, s0, s1, v4
	s_delay_alu instid0(VALU_DEP_1) | instskip(NEXT) | instid1(VALU_DEP_4)
	v_add_co_ci_u32_e64 v5, s0, s2, v5, s0
	v_lshlrev_b64 v[15:16], 4, v[99:100]
	v_mov_b32_e32 v99, v91
	global_load_b128 v[4:7], v[4:5], off
	v_add_co_u32 v15, s0, s1, v15
	s_delay_alu instid0(VALU_DEP_1)
	v_add_co_ci_u32_e64 v16, s0, s2, v16, s0
	global_load_b128 v[15:18], v[15:16], off
	ds_store_b64 v132, v[9:10] offset:8
	ds_store_b128 v12, v[0:3] offset:55296
	ds_load_b128 v[0:3], v14
	ds_load_b128 v[19:22], v12 offset:52992
	s_waitcnt lgkmcnt(0)
	v_add_f64 v[9:10], v[0:1], -v[19:20]
	v_add_f64 v[23:24], v[2:3], v[21:22]
	v_add_f64 v[2:3], v[2:3], -v[21:22]
	v_add_f64 v[0:1], v[0:1], v[19:20]
	s_delay_alu instid0(VALU_DEP_4) | instskip(NEXT) | instid1(VALU_DEP_4)
	v_mul_f64 v[9:10], v[9:10], 0.5
	v_mul_f64 v[21:22], v[23:24], 0.5
	s_delay_alu instid0(VALU_DEP_4) | instskip(SKIP_1) | instid1(VALU_DEP_3)
	v_mul_f64 v[2:3], v[2:3], 0.5
	s_waitcnt vmcnt(1)
	v_mul_f64 v[19:20], v[9:10], v[6:7]
	s_delay_alu instid0(VALU_DEP_2) | instskip(SKIP_1) | instid1(VALU_DEP_3)
	v_fma_f64 v[23:24], v[21:22], v[6:7], v[2:3]
	v_fma_f64 v[6:7], v[21:22], v[6:7], -v[2:3]
	v_fma_f64 v[25:26], v[0:1], 0.5, v[19:20]
	v_fma_f64 v[19:20], v[0:1], 0.5, -v[19:20]
	s_delay_alu instid0(VALU_DEP_4) | instskip(NEXT) | instid1(VALU_DEP_4)
	v_fma_f64 v[2:3], -v[4:5], v[9:10], v[23:24]
	v_fma_f64 v[6:7], -v[4:5], v[9:10], v[6:7]
	v_lshlrev_b64 v[9:10], 4, v[98:99]
	v_mov_b32_e32 v98, v91
	s_delay_alu instid0(VALU_DEP_2) | instskip(NEXT) | instid1(VALU_DEP_1)
	v_add_co_u32 v9, s0, s1, v9
	v_add_co_ci_u32_e64 v10, s0, s2, v10, s0
	v_fma_f64 v[0:1], v[21:22], v[4:5], v[25:26]
	v_fma_f64 v[4:5], -v[21:22], v[4:5], v[19:20]
	global_load_b128 v[19:22], v[9:10], off
	v_add_nc_u32_e32 v25, v133, v13
	ds_store_b128 v14, v[0:3]
	ds_store_b128 v12, v[4:7] offset:52992
	ds_load_b128 v[0:3], v25
	ds_load_b128 v[4:7], v12 offset:50688
	s_waitcnt lgkmcnt(0)
	v_add_f64 v[9:10], v[0:1], -v[4:5]
	v_add_f64 v[13:14], v[2:3], v[6:7]
	v_add_f64 v[2:3], v[2:3], -v[6:7]
	v_add_f64 v[0:1], v[0:1], v[4:5]
	s_delay_alu instid0(VALU_DEP_4) | instskip(NEXT) | instid1(VALU_DEP_4)
	v_mul_f64 v[6:7], v[9:10], 0.5
	v_mul_f64 v[9:10], v[13:14], 0.5
	s_delay_alu instid0(VALU_DEP_4) | instskip(SKIP_1) | instid1(VALU_DEP_3)
	v_mul_f64 v[2:3], v[2:3], 0.5
	s_waitcnt vmcnt(1)
	v_mul_f64 v[4:5], v[6:7], v[17:18]
	s_delay_alu instid0(VALU_DEP_2) | instskip(SKIP_1) | instid1(VALU_DEP_3)
	v_fma_f64 v[13:14], v[9:10], v[17:18], v[2:3]
	v_fma_f64 v[17:18], v[9:10], v[17:18], -v[2:3]
	v_fma_f64 v[23:24], v[0:1], 0.5, v[4:5]
	v_fma_f64 v[4:5], v[0:1], 0.5, -v[4:5]
	s_delay_alu instid0(VALU_DEP_4) | instskip(NEXT) | instid1(VALU_DEP_4)
	v_fma_f64 v[2:3], -v[15:16], v[6:7], v[13:14]
	v_fma_f64 v[6:7], -v[15:16], v[6:7], v[17:18]
	s_delay_alu instid0(VALU_DEP_4) | instskip(NEXT) | instid1(VALU_DEP_4)
	v_fma_f64 v[0:1], v[9:10], v[15:16], v[23:24]
	v_fma_f64 v[4:5], -v[9:10], v[15:16], v[4:5]
	v_lshlrev_b64 v[9:10], 4, v[97:98]
	v_mov_b32_e32 v97, v91
	s_delay_alu instid0(VALU_DEP_2) | instskip(NEXT) | instid1(VALU_DEP_1)
	v_add_co_u32 v9, s0, s1, v9
	v_add_co_ci_u32_e64 v10, s0, s2, v10, s0
	global_load_b128 v[13:16], v[9:10], off
	v_add_nc_u32_e32 v10, v93, v8
	ds_store_b128 v25, v[0:3]
	ds_store_b128 v12, v[4:7] offset:50688
	ds_load_b128 v[0:3], v10
	ds_load_b128 v[4:7], v12 offset:48384
	s_waitcnt lgkmcnt(0)
	v_add_f64 v[8:9], v[0:1], -v[4:5]
	v_add_f64 v[17:18], v[2:3], v[6:7]
	v_add_f64 v[2:3], v[2:3], -v[6:7]
	v_add_f64 v[0:1], v[0:1], v[4:5]
	s_delay_alu instid0(VALU_DEP_4) | instskip(NEXT) | instid1(VALU_DEP_4)
	v_mul_f64 v[6:7], v[8:9], 0.5
	v_mul_f64 v[8:9], v[17:18], 0.5
	s_delay_alu instid0(VALU_DEP_4) | instskip(SKIP_1) | instid1(VALU_DEP_3)
	v_mul_f64 v[2:3], v[2:3], 0.5
	s_waitcnt vmcnt(1)
	v_mul_f64 v[4:5], v[6:7], v[21:22]
	s_delay_alu instid0(VALU_DEP_2) | instskip(SKIP_1) | instid1(VALU_DEP_3)
	v_fma_f64 v[17:18], v[8:9], v[21:22], v[2:3]
	v_fma_f64 v[21:22], v[8:9], v[21:22], -v[2:3]
	v_fma_f64 v[23:24], v[0:1], 0.5, v[4:5]
	v_fma_f64 v[4:5], v[0:1], 0.5, -v[4:5]
	s_delay_alu instid0(VALU_DEP_4) | instskip(NEXT) | instid1(VALU_DEP_4)
	v_fma_f64 v[2:3], -v[19:20], v[6:7], v[17:18]
	v_fma_f64 v[6:7], -v[19:20], v[6:7], v[21:22]
	s_delay_alu instid0(VALU_DEP_4) | instskip(NEXT) | instid1(VALU_DEP_4)
	v_fma_f64 v[0:1], v[8:9], v[19:20], v[23:24]
	v_fma_f64 v[4:5], -v[8:9], v[19:20], v[4:5]
	v_lshlrev_b64 v[8:9], 4, v[96:97]
	s_delay_alu instid0(VALU_DEP_1) | instskip(NEXT) | instid1(VALU_DEP_1)
	v_add_co_u32 v8, s0, s1, v8
	v_add_co_ci_u32_e64 v9, s0, s2, v9, s0
	global_load_b128 v[17:20], v[8:9], off
	ds_store_b128 v10, v[0:3]
	ds_store_b128 v12, v[4:7] offset:48384
	ds_load_b128 v[0:3], v135
	ds_load_b128 v[4:7], v12 offset:46080
	s_waitcnt lgkmcnt(0)
	v_add_f64 v[8:9], v[0:1], -v[4:5]
	v_add_f64 v[21:22], v[2:3], v[6:7]
	v_add_f64 v[2:3], v[2:3], -v[6:7]
	v_add_f64 v[0:1], v[0:1], v[4:5]
	s_delay_alu instid0(VALU_DEP_4) | instskip(NEXT) | instid1(VALU_DEP_4)
	v_mul_f64 v[6:7], v[8:9], 0.5
	v_mul_f64 v[8:9], v[21:22], 0.5
	s_delay_alu instid0(VALU_DEP_4) | instskip(SKIP_1) | instid1(VALU_DEP_3)
	v_mul_f64 v[2:3], v[2:3], 0.5
	s_waitcnt vmcnt(1)
	v_mul_f64 v[4:5], v[6:7], v[15:16]
	s_delay_alu instid0(VALU_DEP_2) | instskip(SKIP_1) | instid1(VALU_DEP_3)
	v_fma_f64 v[21:22], v[8:9], v[15:16], v[2:3]
	v_fma_f64 v[15:16], v[8:9], v[15:16], -v[2:3]
	v_fma_f64 v[23:24], v[0:1], 0.5, v[4:5]
	v_fma_f64 v[4:5], v[0:1], 0.5, -v[4:5]
	s_delay_alu instid0(VALU_DEP_4) | instskip(NEXT) | instid1(VALU_DEP_4)
	v_fma_f64 v[2:3], -v[13:14], v[6:7], v[21:22]
	v_fma_f64 v[6:7], -v[13:14], v[6:7], v[15:16]
	s_delay_alu instid0(VALU_DEP_4) | instskip(NEXT) | instid1(VALU_DEP_4)
	v_fma_f64 v[0:1], v[8:9], v[13:14], v[23:24]
	v_fma_f64 v[4:5], -v[8:9], v[13:14], v[4:5]
	v_lshlrev_b64 v[8:9], 4, v[90:91]
	v_add_nc_u32_e32 v90, 0x3f0, v88
	s_delay_alu instid0(VALU_DEP_2) | instskip(NEXT) | instid1(VALU_DEP_1)
	v_add_co_u32 v8, s0, s1, v8
	v_add_co_ci_u32_e64 v9, s0, s2, v9, s0
	global_load_b128 v[13:16], v[8:9], off
	ds_store_b128 v135, v[0:3]
	ds_store_b128 v12, v[4:7] offset:46080
	ds_load_b128 v[0:3], v11
	ds_load_b128 v[4:7], v12 offset:43776
	s_waitcnt lgkmcnt(0)
	v_add_f64 v[8:9], v[0:1], -v[4:5]
	v_add_f64 v[21:22], v[2:3], v[6:7]
	v_add_f64 v[2:3], v[2:3], -v[6:7]
	v_add_f64 v[0:1], v[0:1], v[4:5]
	s_delay_alu instid0(VALU_DEP_4) | instskip(NEXT) | instid1(VALU_DEP_4)
	v_mul_f64 v[6:7], v[8:9], 0.5
	v_mul_f64 v[8:9], v[21:22], 0.5
	s_delay_alu instid0(VALU_DEP_4) | instskip(SKIP_1) | instid1(VALU_DEP_3)
	v_mul_f64 v[2:3], v[2:3], 0.5
	s_waitcnt vmcnt(1)
	v_mul_f64 v[4:5], v[6:7], v[19:20]
	s_delay_alu instid0(VALU_DEP_2) | instskip(SKIP_1) | instid1(VALU_DEP_3)
	v_fma_f64 v[21:22], v[8:9], v[19:20], v[2:3]
	v_fma_f64 v[19:20], v[8:9], v[19:20], -v[2:3]
	v_fma_f64 v[23:24], v[0:1], 0.5, v[4:5]
	v_fma_f64 v[4:5], v[0:1], 0.5, -v[4:5]
	s_delay_alu instid0(VALU_DEP_4) | instskip(NEXT) | instid1(VALU_DEP_4)
	v_fma_f64 v[2:3], -v[17:18], v[6:7], v[21:22]
	v_fma_f64 v[6:7], -v[17:18], v[6:7], v[19:20]
	s_delay_alu instid0(VALU_DEP_4) | instskip(NEXT) | instid1(VALU_DEP_4)
	v_fma_f64 v[0:1], v[8:9], v[17:18], v[23:24]
	v_fma_f64 v[4:5], -v[8:9], v[17:18], v[4:5]
	v_lshlrev_b64 v[8:9], 4, v[90:91]
	v_add_nc_u32_e32 v90, 0x480, v88
	s_delay_alu instid0(VALU_DEP_2) | instskip(NEXT) | instid1(VALU_DEP_1)
	v_add_co_u32 v8, s0, s1, v8
	v_add_co_ci_u32_e64 v9, s0, s2, v9, s0
	global_load_b128 v[17:20], v[8:9], off
	ds_store_b128 v11, v[0:3]
	ds_store_b128 v12, v[4:7] offset:43776
	ds_load_b128 v[0:3], v132 offset:13824
	ds_load_b128 v[4:7], v12 offset:41472
	s_waitcnt lgkmcnt(0)
	v_add_f64 v[8:9], v[0:1], -v[4:5]
	v_add_f64 v[10:11], v[2:3], v[6:7]
	v_add_f64 v[2:3], v[2:3], -v[6:7]
	v_add_f64 v[0:1], v[0:1], v[4:5]
	s_delay_alu instid0(VALU_DEP_4) | instskip(NEXT) | instid1(VALU_DEP_4)
	v_mul_f64 v[6:7], v[8:9], 0.5
	v_mul_f64 v[8:9], v[10:11], 0.5
	s_delay_alu instid0(VALU_DEP_4) | instskip(SKIP_1) | instid1(VALU_DEP_3)
	v_mul_f64 v[2:3], v[2:3], 0.5
	s_waitcnt vmcnt(1)
	v_mul_f64 v[4:5], v[6:7], v[15:16]
	s_delay_alu instid0(VALU_DEP_2) | instskip(SKIP_1) | instid1(VALU_DEP_3)
	v_fma_f64 v[10:11], v[8:9], v[15:16], v[2:3]
	v_fma_f64 v[15:16], v[8:9], v[15:16], -v[2:3]
	v_fma_f64 v[21:22], v[0:1], 0.5, v[4:5]
	v_fma_f64 v[4:5], v[0:1], 0.5, -v[4:5]
	s_delay_alu instid0(VALU_DEP_4) | instskip(NEXT) | instid1(VALU_DEP_4)
	v_fma_f64 v[2:3], -v[13:14], v[6:7], v[10:11]
	v_fma_f64 v[6:7], -v[13:14], v[6:7], v[15:16]
	s_delay_alu instid0(VALU_DEP_4) | instskip(NEXT) | instid1(VALU_DEP_4)
	v_fma_f64 v[0:1], v[8:9], v[13:14], v[21:22]
	v_fma_f64 v[4:5], -v[8:9], v[13:14], v[4:5]
	v_lshlrev_b64 v[8:9], 4, v[90:91]
	v_add_nc_u32_e32 v90, 0x510, v88
	s_delay_alu instid0(VALU_DEP_2) | instskip(NEXT) | instid1(VALU_DEP_1)
	v_add_co_u32 v8, s0, s1, v8
	v_add_co_ci_u32_e64 v9, s0, s2, v9, s0
	global_load_b128 v[8:11], v[8:9], off
	ds_store_b128 v132, v[0:3] offset:13824
	ds_store_b128 v12, v[4:7] offset:41472
	ds_load_b128 v[0:3], v132 offset:16128
	ds_load_b128 v[4:7], v12 offset:39168
	s_waitcnt lgkmcnt(0)
	v_add_f64 v[13:14], v[0:1], -v[4:5]
	v_add_f64 v[15:16], v[2:3], v[6:7]
	v_add_f64 v[2:3], v[2:3], -v[6:7]
	v_add_f64 v[0:1], v[0:1], v[4:5]
	s_delay_alu instid0(VALU_DEP_4) | instskip(NEXT) | instid1(VALU_DEP_4)
	v_mul_f64 v[6:7], v[13:14], 0.5
	v_mul_f64 v[13:14], v[15:16], 0.5
	s_delay_alu instid0(VALU_DEP_4) | instskip(SKIP_1) | instid1(VALU_DEP_3)
	v_mul_f64 v[2:3], v[2:3], 0.5
	s_waitcnt vmcnt(1)
	v_mul_f64 v[4:5], v[6:7], v[19:20]
	s_delay_alu instid0(VALU_DEP_2) | instskip(SKIP_1) | instid1(VALU_DEP_3)
	v_fma_f64 v[15:16], v[13:14], v[19:20], v[2:3]
	v_fma_f64 v[19:20], v[13:14], v[19:20], -v[2:3]
	v_fma_f64 v[21:22], v[0:1], 0.5, v[4:5]
	v_fma_f64 v[4:5], v[0:1], 0.5, -v[4:5]
	s_delay_alu instid0(VALU_DEP_4) | instskip(NEXT) | instid1(VALU_DEP_4)
	v_fma_f64 v[2:3], -v[17:18], v[6:7], v[15:16]
	v_fma_f64 v[6:7], -v[17:18], v[6:7], v[19:20]
	s_delay_alu instid0(VALU_DEP_4) | instskip(NEXT) | instid1(VALU_DEP_4)
	v_fma_f64 v[0:1], v[13:14], v[17:18], v[21:22]
	v_fma_f64 v[4:5], -v[13:14], v[17:18], v[4:5]
	v_lshlrev_b64 v[13:14], 4, v[90:91]
	v_add_nc_u32_e32 v90, 0x5a0, v88
	s_delay_alu instid0(VALU_DEP_2) | instskip(NEXT) | instid1(VALU_DEP_1)
	v_add_co_u32 v13, s0, s1, v13
	v_add_co_ci_u32_e64 v14, s0, s2, v14, s0
	global_load_b128 v[13:16], v[13:14], off
	ds_store_b128 v132, v[0:3] offset:16128
	;; [unrolled: 33-line block ×3, first 2 shown]
	ds_store_b128 v12, v[4:7] offset:36864
	ds_load_b128 v[0:3], v132 offset:20736
	ds_load_b128 v[4:7], v12 offset:34560
	s_waitcnt lgkmcnt(0)
	v_add_f64 v[17:18], v[0:1], -v[4:5]
	v_add_f64 v[19:20], v[2:3], v[6:7]
	v_add_f64 v[2:3], v[2:3], -v[6:7]
	v_add_f64 v[0:1], v[0:1], v[4:5]
	s_delay_alu instid0(VALU_DEP_4) | instskip(NEXT) | instid1(VALU_DEP_4)
	v_mul_f64 v[6:7], v[17:18], 0.5
	v_mul_f64 v[17:18], v[19:20], 0.5
	s_delay_alu instid0(VALU_DEP_4) | instskip(SKIP_1) | instid1(VALU_DEP_3)
	v_mul_f64 v[2:3], v[2:3], 0.5
	s_waitcnt vmcnt(1)
	v_mul_f64 v[4:5], v[6:7], v[15:16]
	s_delay_alu instid0(VALU_DEP_2) | instskip(SKIP_1) | instid1(VALU_DEP_3)
	v_fma_f64 v[19:20], v[17:18], v[15:16], v[2:3]
	v_fma_f64 v[15:16], v[17:18], v[15:16], -v[2:3]
	v_fma_f64 v[21:22], v[0:1], 0.5, v[4:5]
	v_fma_f64 v[4:5], v[0:1], 0.5, -v[4:5]
	s_delay_alu instid0(VALU_DEP_4) | instskip(NEXT) | instid1(VALU_DEP_4)
	v_fma_f64 v[2:3], -v[13:14], v[6:7], v[19:20]
	v_fma_f64 v[6:7], -v[13:14], v[6:7], v[15:16]
	s_delay_alu instid0(VALU_DEP_4) | instskip(NEXT) | instid1(VALU_DEP_4)
	v_fma_f64 v[0:1], v[17:18], v[13:14], v[21:22]
	v_fma_f64 v[4:5], -v[17:18], v[13:14], v[4:5]
	v_lshlrev_b64 v[13:14], 4, v[90:91]
	s_delay_alu instid0(VALU_DEP_1) | instskip(NEXT) | instid1(VALU_DEP_1)
	v_add_co_u32 v13, s0, s1, v13
	v_add_co_ci_u32_e64 v14, s0, s2, v14, s0
	global_load_b128 v[13:16], v[13:14], off
	ds_store_b128 v132, v[0:3] offset:20736
	ds_store_b128 v12, v[4:7] offset:34560
	ds_load_b128 v[0:3], v132 offset:23040
	ds_load_b128 v[4:7], v12 offset:32256
	s_waitcnt lgkmcnt(0)
	v_add_f64 v[17:18], v[0:1], -v[4:5]
	v_add_f64 v[19:20], v[2:3], v[6:7]
	v_add_f64 v[2:3], v[2:3], -v[6:7]
	v_add_f64 v[0:1], v[0:1], v[4:5]
	s_delay_alu instid0(VALU_DEP_4) | instskip(NEXT) | instid1(VALU_DEP_4)
	v_mul_f64 v[6:7], v[17:18], 0.5
	v_mul_f64 v[17:18], v[19:20], 0.5
	s_delay_alu instid0(VALU_DEP_4) | instskip(SKIP_1) | instid1(VALU_DEP_3)
	v_mul_f64 v[2:3], v[2:3], 0.5
	s_waitcnt vmcnt(1)
	v_mul_f64 v[4:5], v[6:7], v[10:11]
	s_delay_alu instid0(VALU_DEP_2) | instskip(SKIP_1) | instid1(VALU_DEP_3)
	v_fma_f64 v[19:20], v[17:18], v[10:11], v[2:3]
	v_fma_f64 v[10:11], v[17:18], v[10:11], -v[2:3]
	v_fma_f64 v[21:22], v[0:1], 0.5, v[4:5]
	v_fma_f64 v[4:5], v[0:1], 0.5, -v[4:5]
	s_delay_alu instid0(VALU_DEP_4) | instskip(NEXT) | instid1(VALU_DEP_4)
	v_fma_f64 v[2:3], -v[8:9], v[6:7], v[19:20]
	v_fma_f64 v[6:7], -v[8:9], v[6:7], v[10:11]
	s_delay_alu instid0(VALU_DEP_4) | instskip(NEXT) | instid1(VALU_DEP_4)
	v_fma_f64 v[0:1], v[17:18], v[8:9], v[21:22]
	v_fma_f64 v[4:5], -v[17:18], v[8:9], v[4:5]
	ds_store_b128 v132, v[0:3] offset:23040
	ds_store_b128 v12, v[4:7] offset:32256
	ds_load_b128 v[0:3], v132 offset:25344
	ds_load_b128 v[4:7], v12 offset:29952
	s_waitcnt lgkmcnt(0)
	v_add_f64 v[8:9], v[0:1], -v[4:5]
	v_add_f64 v[10:11], v[2:3], v[6:7]
	v_add_f64 v[2:3], v[2:3], -v[6:7]
	v_add_f64 v[0:1], v[0:1], v[4:5]
	s_delay_alu instid0(VALU_DEP_4) | instskip(NEXT) | instid1(VALU_DEP_4)
	v_mul_f64 v[6:7], v[8:9], 0.5
	v_mul_f64 v[8:9], v[10:11], 0.5
	s_delay_alu instid0(VALU_DEP_4) | instskip(SKIP_1) | instid1(VALU_DEP_3)
	v_mul_f64 v[2:3], v[2:3], 0.5
	s_waitcnt vmcnt(0)
	v_mul_f64 v[4:5], v[6:7], v[15:16]
	s_delay_alu instid0(VALU_DEP_2) | instskip(SKIP_1) | instid1(VALU_DEP_3)
	v_fma_f64 v[10:11], v[8:9], v[15:16], v[2:3]
	v_fma_f64 v[15:16], v[8:9], v[15:16], -v[2:3]
	v_fma_f64 v[17:18], v[0:1], 0.5, v[4:5]
	v_fma_f64 v[4:5], v[0:1], 0.5, -v[4:5]
	s_delay_alu instid0(VALU_DEP_4) | instskip(NEXT) | instid1(VALU_DEP_4)
	v_fma_f64 v[2:3], -v[13:14], v[6:7], v[10:11]
	v_fma_f64 v[6:7], -v[13:14], v[6:7], v[15:16]
	s_delay_alu instid0(VALU_DEP_4) | instskip(NEXT) | instid1(VALU_DEP_4)
	v_fma_f64 v[0:1], v[8:9], v[13:14], v[17:18]
	v_fma_f64 v[4:5], -v[8:9], v[13:14], v[4:5]
	ds_store_b128 v132, v[0:3] offset:25344
	ds_store_b128 v12, v[4:7] offset:29952
	s_waitcnt lgkmcnt(0)
	s_barrier
	buffer_gl0_inv
	s_and_saveexec_b32 s0, vcc_lo
	s_cbranch_execz .LBB0_20
; %bb.18:
	ds_load_b128 v[2:5], v132
	ds_load_b128 v[6:9], v132 offset:2304
	v_mov_b32_e32 v89, v91
	v_add_co_u32 v0, vcc_lo, s8, v94
	v_add_co_ci_u32_e32 v1, vcc_lo, s9, v95, vcc_lo
	s_delay_alu instid0(VALU_DEP_3)
	v_lshlrev_b64 v[22:23], 4, v[88:89]
	ds_load_b128 v[10:13], v132 offset:4608
	ds_load_b128 v[14:17], v132 offset:6912
	ds_load_b128 v[18:21], v132 offset:9216
	v_mov_b32_e32 v93, v91
	v_add_co_u32 v38, vcc_lo, v0, v22
	v_add_co_ci_u32_e32 v39, vcc_lo, v1, v23, vcc_lo
	ds_load_b128 v[22:25], v132 offset:11520
	ds_load_b128 v[26:29], v132 offset:13824
	;; [unrolled: 1-line block ×4, first 2 shown]
	s_waitcnt lgkmcnt(8)
	global_store_b128 v[38:39], v[2:5], off
	s_waitcnt lgkmcnt(7)
	global_store_b128 v[38:39], v[6:9], off offset:2304
	v_add_co_u32 v2, vcc_lo, 0x1000, v38
	v_add_co_ci_u32_e32 v3, vcc_lo, 0, v39, vcc_lo
	v_add_co_u32 v4, vcc_lo, 0x2000, v38
	v_add_co_ci_u32_e32 v5, vcc_lo, 0, v39, vcc_lo
	;; [unrolled: 2-line block ×3, first 2 shown]
	s_waitcnt lgkmcnt(6)
	global_store_b128 v[2:3], v[10:13], off offset:512
	s_waitcnt lgkmcnt(5)
	global_store_b128 v[2:3], v[14:17], off offset:2816
	s_waitcnt lgkmcnt(4)
	global_store_b128 v[4:5], v[18:21], off offset:1024
	s_waitcnt lgkmcnt(3)
	global_store_b128 v[4:5], v[22:25], off offset:3328
	ds_load_b128 v[2:5], v132 offset:18432
	s_waitcnt lgkmcnt(3)
	global_store_b128 v[6:7], v[26:29], off offset:1536
	s_waitcnt lgkmcnt(2)
	global_store_b128 v[6:7], v[30:33], off offset:3840
	ds_load_b128 v[6:9], v132 offset:20736
	ds_load_b128 v[10:13], v132 offset:23040
	ds_load_b128 v[14:17], v132 offset:25344
	v_add_co_u32 v40, vcc_lo, 0x4000, v38
	v_add_co_ci_u32_e32 v41, vcc_lo, 0, v39, vcc_lo
	ds_load_b128 v[18:21], v132 offset:27648
	ds_load_b128 v[22:25], v132 offset:29952
	;; [unrolled: 1-line block ×4, first 2 shown]
	v_add_co_u32 v42, vcc_lo, 0x5000, v38
	v_add_co_ci_u32_e32 v43, vcc_lo, 0, v39, vcc_lo
	v_add_co_u32 v44, vcc_lo, 0x6000, v38
	v_add_co_ci_u32_e32 v45, vcc_lo, 0, v39, vcc_lo
	s_waitcnt lgkmcnt(7)
	global_store_b128 v[40:41], v[2:5], off offset:2048
	s_waitcnt lgkmcnt(6)
	global_store_b128 v[42:43], v[6:9], off offset:256
	;; [unrolled: 2-line block ×4, first 2 shown]
	ds_load_b128 v[2:5], v132 offset:36864
	ds_load_b128 v[6:9], v132 offset:39168
	v_add_co_u32 v10, vcc_lo, 0x7000, v38
	v_lshlrev_b64 v[14:15], 4, v[92:93]
	v_add_co_ci_u32_e32 v11, vcc_lo, 0, v39, vcc_lo
	v_add_co_u32 v12, vcc_lo, 0x8000, v38
	v_add_co_ci_u32_e32 v13, vcc_lo, 0, v39, vcc_lo
	s_waitcnt lgkmcnt(5)
	global_store_b128 v[44:45], v[18:21], off offset:3072
	s_waitcnt lgkmcnt(4)
	global_store_b128 v[10:11], v[22:25], off offset:1280
	;; [unrolled: 2-line block ×4, first 2 shown]
	v_add_co_u32 v30, vcc_lo, v0, v14
	v_add_co_ci_u32_e32 v31, vcc_lo, v1, v15, vcc_lo
	ds_load_b128 v[10:13], v132 offset:41472
	ds_load_b128 v[14:17], v132 offset:43776
	v_add_co_u32 v32, vcc_lo, 0x9000, v38
	ds_load_b128 v[18:21], v132 offset:46080
	ds_load_b128 v[22:25], v132 offset:48384
	;; [unrolled: 1-line block ×3, first 2 shown]
	v_add_co_ci_u32_e32 v33, vcc_lo, 0, v39, vcc_lo
	s_waitcnt lgkmcnt(6)
	global_store_b128 v[30:31], v[2:5], off
	s_waitcnt lgkmcnt(5)
	global_store_b128 v[32:33], v[6:9], off offset:2304
	v_add_co_u32 v2, vcc_lo, 0xa000, v38
	v_add_co_ci_u32_e32 v3, vcc_lo, 0, v39, vcc_lo
	v_add_co_u32 v4, vcc_lo, 0xb000, v38
	v_add_co_ci_u32_e32 v5, vcc_lo, 0, v39, vcc_lo
	;; [unrolled: 2-line block ×3, first 2 shown]
	v_cmp_eq_u32_e32 vcc_lo, 0x8f, v88
	s_waitcnt lgkmcnt(4)
	global_store_b128 v[2:3], v[10:13], off offset:512
	s_waitcnt lgkmcnt(3)
	global_store_b128 v[2:3], v[14:17], off offset:2816
	;; [unrolled: 2-line block ×4, first 2 shown]
	s_waitcnt lgkmcnt(0)
	s_clause 0x1
	global_store_b128 v[6:7], v[26:29], off offset:1536
	global_store_b128 v[6:7], v[34:37], off offset:3840
	s_and_b32 exec_lo, exec_lo, vcc_lo
	s_cbranch_execz .LBB0_20
; %bb.19:
	v_mov_b32_e32 v2, 0
	v_add_co_u32 v0, vcc_lo, 0xd000, v0
	v_add_co_ci_u32_e32 v1, vcc_lo, 0, v1, vcc_lo
	ds_load_b128 v[2:5], v2 offset:55296
	s_waitcnt lgkmcnt(0)
	global_store_b128 v[0:1], v[2:5], off offset:2048
.LBB0_20:
	s_nop 0
	s_sendmsg sendmsg(MSG_DEALLOC_VGPRS)
	s_endpgm
	.section	.rodata,"a",@progbits
	.p2align	6, 0x0
	.amdhsa_kernel fft_rtc_back_len3456_factors_6_6_6_4_4_wgs_144_tpt_144_halfLds_dp_ip_CI_unitstride_sbrr_R2C_dirReg
		.amdhsa_group_segment_fixed_size 0
		.amdhsa_private_segment_fixed_size 0
		.amdhsa_kernarg_size 88
		.amdhsa_user_sgpr_count 15
		.amdhsa_user_sgpr_dispatch_ptr 0
		.amdhsa_user_sgpr_queue_ptr 0
		.amdhsa_user_sgpr_kernarg_segment_ptr 1
		.amdhsa_user_sgpr_dispatch_id 0
		.amdhsa_user_sgpr_private_segment_size 0
		.amdhsa_wavefront_size32 1
		.amdhsa_uses_dynamic_stack 0
		.amdhsa_enable_private_segment 0
		.amdhsa_system_sgpr_workgroup_id_x 1
		.amdhsa_system_sgpr_workgroup_id_y 0
		.amdhsa_system_sgpr_workgroup_id_z 0
		.amdhsa_system_sgpr_workgroup_info 0
		.amdhsa_system_vgpr_workitem_id 0
		.amdhsa_next_free_vgpr 170
		.amdhsa_next_free_sgpr 21
		.amdhsa_reserve_vcc 1
		.amdhsa_float_round_mode_32 0
		.amdhsa_float_round_mode_16_64 0
		.amdhsa_float_denorm_mode_32 3
		.amdhsa_float_denorm_mode_16_64 3
		.amdhsa_dx10_clamp 1
		.amdhsa_ieee_mode 1
		.amdhsa_fp16_overflow 0
		.amdhsa_workgroup_processor_mode 1
		.amdhsa_memory_ordered 1
		.amdhsa_forward_progress 0
		.amdhsa_shared_vgpr_count 0
		.amdhsa_exception_fp_ieee_invalid_op 0
		.amdhsa_exception_fp_denorm_src 0
		.amdhsa_exception_fp_ieee_div_zero 0
		.amdhsa_exception_fp_ieee_overflow 0
		.amdhsa_exception_fp_ieee_underflow 0
		.amdhsa_exception_fp_ieee_inexact 0
		.amdhsa_exception_int_div_zero 0
	.end_amdhsa_kernel
	.text
.Lfunc_end0:
	.size	fft_rtc_back_len3456_factors_6_6_6_4_4_wgs_144_tpt_144_halfLds_dp_ip_CI_unitstride_sbrr_R2C_dirReg, .Lfunc_end0-fft_rtc_back_len3456_factors_6_6_6_4_4_wgs_144_tpt_144_halfLds_dp_ip_CI_unitstride_sbrr_R2C_dirReg
                                        ; -- End function
	.section	.AMDGPU.csdata,"",@progbits
; Kernel info:
; codeLenInByte = 19364
; NumSgprs: 23
; NumVgprs: 170
; ScratchSize: 0
; MemoryBound: 0
; FloatMode: 240
; IeeeMode: 1
; LDSByteSize: 0 bytes/workgroup (compile time only)
; SGPRBlocks: 2
; VGPRBlocks: 21
; NumSGPRsForWavesPerEU: 23
; NumVGPRsForWavesPerEU: 170
; Occupancy: 8
; WaveLimiterHint : 1
; COMPUTE_PGM_RSRC2:SCRATCH_EN: 0
; COMPUTE_PGM_RSRC2:USER_SGPR: 15
; COMPUTE_PGM_RSRC2:TRAP_HANDLER: 0
; COMPUTE_PGM_RSRC2:TGID_X_EN: 1
; COMPUTE_PGM_RSRC2:TGID_Y_EN: 0
; COMPUTE_PGM_RSRC2:TGID_Z_EN: 0
; COMPUTE_PGM_RSRC2:TIDIG_COMP_CNT: 0
	.text
	.p2alignl 7, 3214868480
	.fill 96, 4, 3214868480
	.type	__hip_cuid_6f9bc5495b055ff1,@object ; @__hip_cuid_6f9bc5495b055ff1
	.section	.bss,"aw",@nobits
	.globl	__hip_cuid_6f9bc5495b055ff1
__hip_cuid_6f9bc5495b055ff1:
	.byte	0                               ; 0x0
	.size	__hip_cuid_6f9bc5495b055ff1, 1

	.ident	"AMD clang version 19.0.0git (https://github.com/RadeonOpenCompute/llvm-project roc-6.4.0 25133 c7fe45cf4b819c5991fe208aaa96edf142730f1d)"
	.section	".note.GNU-stack","",@progbits
	.addrsig
	.addrsig_sym __hip_cuid_6f9bc5495b055ff1
	.amdgpu_metadata
---
amdhsa.kernels:
  - .args:
      - .actual_access:  read_only
        .address_space:  global
        .offset:         0
        .size:           8
        .value_kind:     global_buffer
      - .offset:         8
        .size:           8
        .value_kind:     by_value
      - .actual_access:  read_only
        .address_space:  global
        .offset:         16
        .size:           8
        .value_kind:     global_buffer
      - .actual_access:  read_only
        .address_space:  global
        .offset:         24
        .size:           8
        .value_kind:     global_buffer
      - .offset:         32
        .size:           8
        .value_kind:     by_value
      - .actual_access:  read_only
        .address_space:  global
        .offset:         40
        .size:           8
        .value_kind:     global_buffer
      - .actual_access:  read_only
        .address_space:  global
        .offset:         48
        .size:           8
        .value_kind:     global_buffer
      - .offset:         56
        .size:           4
        .value_kind:     by_value
      - .actual_access:  read_only
        .address_space:  global
        .offset:         64
        .size:           8
        .value_kind:     global_buffer
      - .actual_access:  read_only
        .address_space:  global
        .offset:         72
        .size:           8
        .value_kind:     global_buffer
      - .address_space:  global
        .offset:         80
        .size:           8
        .value_kind:     global_buffer
    .group_segment_fixed_size: 0
    .kernarg_segment_align: 8
    .kernarg_segment_size: 88
    .language:       OpenCL C
    .language_version:
      - 2
      - 0
    .max_flat_workgroup_size: 144
    .name:           fft_rtc_back_len3456_factors_6_6_6_4_4_wgs_144_tpt_144_halfLds_dp_ip_CI_unitstride_sbrr_R2C_dirReg
    .private_segment_fixed_size: 0
    .sgpr_count:     23
    .sgpr_spill_count: 0
    .symbol:         fft_rtc_back_len3456_factors_6_6_6_4_4_wgs_144_tpt_144_halfLds_dp_ip_CI_unitstride_sbrr_R2C_dirReg.kd
    .uniform_work_group_size: 1
    .uses_dynamic_stack: false
    .vgpr_count:     170
    .vgpr_spill_count: 0
    .wavefront_size: 32
    .workgroup_processor_mode: 1
amdhsa.target:   amdgcn-amd-amdhsa--gfx1100
amdhsa.version:
  - 1
  - 2
...

	.end_amdgpu_metadata
